;; amdgpu-corpus repo=ROCm/rocFFT kind=compiled arch=gfx906 opt=O3
	.text
	.amdgcn_target "amdgcn-amd-amdhsa--gfx906"
	.amdhsa_code_object_version 6
	.protected	fft_rtc_back_len3240_factors_3_3_10_6_6_wgs_108_tpt_108_halfLds_dp_ip_CI_unitstride_sbrr_C2R_dirReg ; -- Begin function fft_rtc_back_len3240_factors_3_3_10_6_6_wgs_108_tpt_108_halfLds_dp_ip_CI_unitstride_sbrr_C2R_dirReg
	.globl	fft_rtc_back_len3240_factors_3_3_10_6_6_wgs_108_tpt_108_halfLds_dp_ip_CI_unitstride_sbrr_C2R_dirReg
	.p2align	8
	.type	fft_rtc_back_len3240_factors_3_3_10_6_6_wgs_108_tpt_108_halfLds_dp_ip_CI_unitstride_sbrr_C2R_dirReg,@function
fft_rtc_back_len3240_factors_3_3_10_6_6_wgs_108_tpt_108_halfLds_dp_ip_CI_unitstride_sbrr_C2R_dirReg: ; @fft_rtc_back_len3240_factors_3_3_10_6_6_wgs_108_tpt_108_halfLds_dp_ip_CI_unitstride_sbrr_C2R_dirReg
; %bb.0:
	s_load_dwordx2 s[2:3], s[4:5], 0x50
	s_load_dwordx4 s[8:11], s[4:5], 0x0
	s_load_dwordx2 s[12:13], s[4:5], 0x18
	v_mul_u32_u24_e32 v1, 0x25f, v0
	v_add_u32_sdwa v5, s6, v1 dst_sel:DWORD dst_unused:UNUSED_PAD src0_sel:DWORD src1_sel:WORD_1
	v_mov_b32_e32 v3, 0
	s_waitcnt lgkmcnt(0)
	v_cmp_lt_u64_e64 s[0:1], s[10:11], 2
	v_mov_b32_e32 v1, 0
	v_mov_b32_e32 v6, v3
	s_and_b64 vcc, exec, s[0:1]
	v_mov_b32_e32 v2, 0
	s_cbranch_vccnz .LBB0_8
; %bb.1:
	s_load_dwordx2 s[0:1], s[4:5], 0x10
	s_add_u32 s6, s12, 8
	s_addc_u32 s7, s13, 0
	v_mov_b32_e32 v1, 0
	v_mov_b32_e32 v2, 0
	s_waitcnt lgkmcnt(0)
	s_add_u32 s14, s0, 8
	s_addc_u32 s15, s1, 0
	s_mov_b64 s[16:17], 1
.LBB0_2:                                ; =>This Inner Loop Header: Depth=1
	s_load_dwordx2 s[18:19], s[14:15], 0x0
                                        ; implicit-def: $vgpr7_vgpr8
	s_waitcnt lgkmcnt(0)
	v_or_b32_e32 v4, s19, v6
	v_cmp_ne_u64_e32 vcc, 0, v[3:4]
	s_and_saveexec_b64 s[0:1], vcc
	s_xor_b64 s[20:21], exec, s[0:1]
	s_cbranch_execz .LBB0_4
; %bb.3:                                ;   in Loop: Header=BB0_2 Depth=1
	v_cvt_f32_u32_e32 v4, s18
	v_cvt_f32_u32_e32 v7, s19
	s_sub_u32 s0, 0, s18
	s_subb_u32 s1, 0, s19
	v_mac_f32_e32 v4, 0x4f800000, v7
	v_rcp_f32_e32 v4, v4
	v_mul_f32_e32 v4, 0x5f7ffffc, v4
	v_mul_f32_e32 v7, 0x2f800000, v4
	v_trunc_f32_e32 v7, v7
	v_mac_f32_e32 v4, 0xcf800000, v7
	v_cvt_u32_f32_e32 v7, v7
	v_cvt_u32_f32_e32 v4, v4
	v_mul_lo_u32 v8, s0, v7
	v_mul_hi_u32 v9, s0, v4
	v_mul_lo_u32 v11, s1, v4
	v_mul_lo_u32 v10, s0, v4
	v_add_u32_e32 v8, v9, v8
	v_add_u32_e32 v8, v8, v11
	v_mul_hi_u32 v9, v4, v10
	v_mul_lo_u32 v11, v4, v8
	v_mul_hi_u32 v13, v4, v8
	v_mul_hi_u32 v12, v7, v10
	v_mul_lo_u32 v10, v7, v10
	v_mul_hi_u32 v14, v7, v8
	v_add_co_u32_e32 v9, vcc, v9, v11
	v_addc_co_u32_e32 v11, vcc, 0, v13, vcc
	v_mul_lo_u32 v8, v7, v8
	v_add_co_u32_e32 v9, vcc, v9, v10
	v_addc_co_u32_e32 v9, vcc, v11, v12, vcc
	v_addc_co_u32_e32 v10, vcc, 0, v14, vcc
	v_add_co_u32_e32 v8, vcc, v9, v8
	v_addc_co_u32_e32 v9, vcc, 0, v10, vcc
	v_add_co_u32_e32 v4, vcc, v4, v8
	v_addc_co_u32_e32 v7, vcc, v7, v9, vcc
	v_mul_lo_u32 v8, s0, v7
	v_mul_hi_u32 v9, s0, v4
	v_mul_lo_u32 v10, s1, v4
	v_mul_lo_u32 v11, s0, v4
	v_add_u32_e32 v8, v9, v8
	v_add_u32_e32 v8, v8, v10
	v_mul_lo_u32 v12, v4, v8
	v_mul_hi_u32 v13, v4, v11
	v_mul_hi_u32 v14, v4, v8
	;; [unrolled: 1-line block ×3, first 2 shown]
	v_mul_lo_u32 v11, v7, v11
	v_mul_hi_u32 v9, v7, v8
	v_add_co_u32_e32 v12, vcc, v13, v12
	v_addc_co_u32_e32 v13, vcc, 0, v14, vcc
	v_mul_lo_u32 v8, v7, v8
	v_add_co_u32_e32 v11, vcc, v12, v11
	v_addc_co_u32_e32 v10, vcc, v13, v10, vcc
	v_addc_co_u32_e32 v9, vcc, 0, v9, vcc
	v_add_co_u32_e32 v8, vcc, v10, v8
	v_addc_co_u32_e32 v9, vcc, 0, v9, vcc
	v_add_co_u32_e32 v4, vcc, v4, v8
	v_addc_co_u32_e32 v9, vcc, v7, v9, vcc
	v_mad_u64_u32 v[7:8], s[0:1], v5, v9, 0
	v_mul_hi_u32 v10, v5, v4
	v_add_co_u32_e32 v11, vcc, v10, v7
	v_addc_co_u32_e32 v12, vcc, 0, v8, vcc
	v_mad_u64_u32 v[7:8], s[0:1], v6, v4, 0
	v_mad_u64_u32 v[9:10], s[0:1], v6, v9, 0
	v_add_co_u32_e32 v4, vcc, v11, v7
	v_addc_co_u32_e32 v4, vcc, v12, v8, vcc
	v_addc_co_u32_e32 v7, vcc, 0, v10, vcc
	v_add_co_u32_e32 v4, vcc, v4, v9
	v_addc_co_u32_e32 v9, vcc, 0, v7, vcc
	v_mul_lo_u32 v10, s19, v4
	v_mul_lo_u32 v11, s18, v9
	v_mad_u64_u32 v[7:8], s[0:1], s18, v4, 0
	v_add3_u32 v8, v8, v11, v10
	v_sub_u32_e32 v10, v6, v8
	v_mov_b32_e32 v11, s19
	v_sub_co_u32_e32 v7, vcc, v5, v7
	v_subb_co_u32_e64 v10, s[0:1], v10, v11, vcc
	v_subrev_co_u32_e64 v11, s[0:1], s18, v7
	v_subbrev_co_u32_e64 v10, s[0:1], 0, v10, s[0:1]
	v_cmp_le_u32_e64 s[0:1], s19, v10
	v_cndmask_b32_e64 v12, 0, -1, s[0:1]
	v_cmp_le_u32_e64 s[0:1], s18, v11
	v_cndmask_b32_e64 v11, 0, -1, s[0:1]
	v_cmp_eq_u32_e64 s[0:1], s19, v10
	v_cndmask_b32_e64 v10, v12, v11, s[0:1]
	v_add_co_u32_e64 v11, s[0:1], 2, v4
	v_addc_co_u32_e64 v12, s[0:1], 0, v9, s[0:1]
	v_add_co_u32_e64 v13, s[0:1], 1, v4
	v_addc_co_u32_e64 v14, s[0:1], 0, v9, s[0:1]
	v_subb_co_u32_e32 v8, vcc, v6, v8, vcc
	v_cmp_ne_u32_e64 s[0:1], 0, v10
	v_cmp_le_u32_e32 vcc, s19, v8
	v_cndmask_b32_e64 v10, v14, v12, s[0:1]
	v_cndmask_b32_e64 v12, 0, -1, vcc
	v_cmp_le_u32_e32 vcc, s18, v7
	v_cndmask_b32_e64 v7, 0, -1, vcc
	v_cmp_eq_u32_e32 vcc, s19, v8
	v_cndmask_b32_e32 v7, v12, v7, vcc
	v_cmp_ne_u32_e32 vcc, 0, v7
	v_cndmask_b32_e64 v7, v13, v11, s[0:1]
	v_cndmask_b32_e32 v8, v9, v10, vcc
	v_cndmask_b32_e32 v7, v4, v7, vcc
.LBB0_4:                                ;   in Loop: Header=BB0_2 Depth=1
	s_andn2_saveexec_b64 s[0:1], s[20:21]
	s_cbranch_execz .LBB0_6
; %bb.5:                                ;   in Loop: Header=BB0_2 Depth=1
	v_cvt_f32_u32_e32 v4, s18
	s_sub_i32 s20, 0, s18
	v_rcp_iflag_f32_e32 v4, v4
	v_mul_f32_e32 v4, 0x4f7ffffe, v4
	v_cvt_u32_f32_e32 v4, v4
	v_mul_lo_u32 v7, s20, v4
	v_mul_hi_u32 v7, v4, v7
	v_add_u32_e32 v4, v4, v7
	v_mul_hi_u32 v4, v5, v4
	v_mul_lo_u32 v7, v4, s18
	v_add_u32_e32 v8, 1, v4
	v_sub_u32_e32 v7, v5, v7
	v_subrev_u32_e32 v9, s18, v7
	v_cmp_le_u32_e32 vcc, s18, v7
	v_cndmask_b32_e32 v7, v7, v9, vcc
	v_cndmask_b32_e32 v4, v4, v8, vcc
	v_add_u32_e32 v8, 1, v4
	v_cmp_le_u32_e32 vcc, s18, v7
	v_cndmask_b32_e32 v7, v4, v8, vcc
	v_mov_b32_e32 v8, v3
.LBB0_6:                                ;   in Loop: Header=BB0_2 Depth=1
	s_or_b64 exec, exec, s[0:1]
	v_mul_lo_u32 v4, v8, s18
	v_mul_lo_u32 v11, v7, s19
	v_mad_u64_u32 v[9:10], s[0:1], v7, s18, 0
	s_load_dwordx2 s[0:1], s[6:7], 0x0
	s_add_u32 s16, s16, 1
	v_add3_u32 v4, v10, v11, v4
	v_sub_co_u32_e32 v5, vcc, v5, v9
	v_subb_co_u32_e32 v4, vcc, v6, v4, vcc
	s_waitcnt lgkmcnt(0)
	v_mul_lo_u32 v4, s0, v4
	v_mul_lo_u32 v6, s1, v5
	v_mad_u64_u32 v[1:2], s[0:1], s0, v5, v[1:2]
	s_addc_u32 s17, s17, 0
	s_add_u32 s6, s6, 8
	v_add3_u32 v2, v6, v2, v4
	v_mov_b32_e32 v4, s10
	v_mov_b32_e32 v5, s11
	s_addc_u32 s7, s7, 0
	v_cmp_ge_u64_e32 vcc, s[16:17], v[4:5]
	s_add_u32 s14, s14, 8
	s_addc_u32 s15, s15, 0
	s_cbranch_vccnz .LBB0_9
; %bb.7:                                ;   in Loop: Header=BB0_2 Depth=1
	v_mov_b32_e32 v5, v7
	v_mov_b32_e32 v6, v8
	s_branch .LBB0_2
.LBB0_8:
	v_mov_b32_e32 v8, v6
	v_mov_b32_e32 v7, v5
.LBB0_9:
	s_lshl_b64 s[0:1], s[10:11], 3
	s_add_u32 s0, s12, s0
	s_addc_u32 s1, s13, s1
	s_load_dwordx2 s[6:7], s[0:1], 0x0
	s_load_dwordx2 s[10:11], s[4:5], 0x20
	s_waitcnt lgkmcnt(0)
	v_mad_u64_u32 v[1:2], s[0:1], s6, v7, v[1:2]
	v_mul_lo_u32 v3, s6, v8
	v_mul_lo_u32 v4, s7, v7
	s_mov_b32 s0, 0x25ed098
	v_mul_hi_u32 v5, v0, s0
	v_cmp_gt_u64_e64 s[0:1], s[10:11], v[7:8]
	v_add3_u32 v2, v4, v2, v3
	v_lshlrev_b64 v[30:31], 4, v[1:2]
	v_mul_u32_u24_e32 v3, 0x6c, v5
	v_sub_u32_e32 v28, v0, v3
	s_and_saveexec_b64 s[4:5], s[0:1]
	s_cbranch_execz .LBB0_13
; %bb.10:
	v_mov_b32_e32 v29, 0
	v_mov_b32_e32 v0, s3
	v_add_co_u32_e32 v1, vcc, s2, v30
	v_lshlrev_b64 v[2:3], 4, v[28:29]
	v_addc_co_u32_e32 v0, vcc, v0, v31, vcc
	v_add_co_u32_e32 v26, vcc, v1, v2
	v_addc_co_u32_e32 v27, vcc, v0, v3, vcc
	s_movk_i32 s6, 0x1000
	v_add_co_u32_e32 v32, vcc, s6, v26
	v_addc_co_u32_e32 v33, vcc, 0, v27, vcc
	s_movk_i32 s6, 0x2000
	;; [unrolled: 3-line block ×7, first 2 shown]
	v_add_co_u32_e32 v98, vcc, s6, v26
	s_mov_b32 s7, 0x8000
	v_addc_co_u32_e32 v99, vcc, 0, v27, vcc
	v_add_co_u32_e32 v100, vcc, s7, v26
	v_addc_co_u32_e32 v101, vcc, 0, v27, vcc
	s_mov_b32 s6, 0x9000
	v_add_co_u32_e32 v104, vcc, s6, v26
	v_addc_co_u32_e32 v105, vcc, 0, v27, vcc
	s_mov_b32 s6, 0xa000
	;; [unrolled: 3-line block ×3, first 2 shown]
	v_add_co_u32_e32 v122, vcc, s6, v26
	v_addc_co_u32_e32 v123, vcc, 0, v27, vcc
	global_load_dwordx4 v[2:5], v[26:27], off
	global_load_dwordx4 v[6:9], v[26:27], off offset:1728
	global_load_dwordx4 v[10:13], v[26:27], off offset:3456
	;; [unrolled: 1-line block ×3, first 2 shown]
	v_add_co_u32_e32 v26, vcc, 0xc000, v26
	global_load_dwordx4 v[18:21], v[32:33], off offset:2816
	global_load_dwordx4 v[22:25], v[40:41], off offset:448
	s_nop 0
	global_load_dwordx4 v[32:35], v[40:41], off offset:2176
	global_load_dwordx4 v[36:39], v[40:41], off offset:3904
	s_nop 0
	;; [unrolled: 3-line block ×4, first 2 shown]
	global_load_dwordx4 v[56:59], v[72:73], off offset:256
	global_load_dwordx4 v[60:63], v[72:73], off offset:1984
	;; [unrolled: 1-line block ×4, first 2 shown]
	s_nop 0
	global_load_dwordx4 v[72:75], v[96:97], off offset:3072
	global_load_dwordx4 v[76:79], v[98:99], off offset:704
	;; [unrolled: 1-line block ×6, first 2 shown]
	s_nop 0
	global_load_dwordx4 v[96:99], v[104:105], off offset:1152
	global_load_dwordx4 v[100:103], v[104:105], off offset:2880
	s_nop 0
	global_load_dwordx4 v[104:107], v[120:121], off offset:512
	global_load_dwordx4 v[108:111], v[120:121], off offset:2240
	;; [unrolled: 1-line block ×4, first 2 shown]
	v_addc_co_u32_e32 v27, vcc, 0, v27, vcc
	global_load_dwordx4 v[120:123], v[122:123], off offset:3328
	s_nop 0
	global_load_dwordx4 v[124:127], v[26:27], off offset:960
	s_movk_i32 s6, 0x6b
	v_lshl_add_u32 v26, v28, 4, 0
	v_cmp_eq_u32_e32 vcc, s6, v28
	s_waitcnt vmcnt(29)
	ds_write_b128 v26, v[2:5]
	s_waitcnt vmcnt(28)
	ds_write_b128 v26, v[6:9] offset:1728
	s_waitcnt vmcnt(27)
	ds_write_b128 v26, v[10:13] offset:3456
	s_waitcnt vmcnt(26)
	ds_write_b128 v26, v[14:17] offset:5184
	s_waitcnt vmcnt(25)
	ds_write_b128 v26, v[18:21] offset:6912
	s_waitcnt vmcnt(24)
	ds_write_b128 v26, v[22:25] offset:8640
	s_waitcnt vmcnt(23)
	ds_write_b128 v26, v[32:35] offset:10368
	s_waitcnt vmcnt(22)
	ds_write_b128 v26, v[36:39] offset:12096
	s_waitcnt vmcnt(21)
	ds_write_b128 v26, v[40:43] offset:13824
	s_waitcnt vmcnt(20)
	ds_write_b128 v26, v[44:47] offset:15552
	s_waitcnt vmcnt(19)
	ds_write_b128 v26, v[48:51] offset:17280
	s_waitcnt vmcnt(18)
	ds_write_b128 v26, v[52:55] offset:19008
	s_waitcnt vmcnt(17)
	ds_write_b128 v26, v[56:59] offset:20736
	s_waitcnt vmcnt(16)
	ds_write_b128 v26, v[60:63] offset:22464
	s_waitcnt vmcnt(15)
	ds_write_b128 v26, v[64:67] offset:24192
	s_waitcnt vmcnt(14)
	ds_write_b128 v26, v[68:71] offset:25920
	s_waitcnt vmcnt(13)
	ds_write_b128 v26, v[72:75] offset:27648
	s_waitcnt vmcnt(12)
	ds_write_b128 v26, v[76:79] offset:29376
	s_waitcnt vmcnt(11)
	ds_write_b128 v26, v[80:83] offset:31104
	s_waitcnt vmcnt(10)
	ds_write_b128 v26, v[84:87] offset:32832
	s_waitcnt vmcnt(9)
	ds_write_b128 v26, v[88:91] offset:34560
	s_waitcnt vmcnt(8)
	ds_write_b128 v26, v[92:95] offset:36288
	s_waitcnt vmcnt(7)
	ds_write_b128 v26, v[96:99] offset:38016
	s_waitcnt vmcnt(6)
	ds_write_b128 v26, v[100:103] offset:39744
	s_waitcnt vmcnt(5)
	ds_write_b128 v26, v[104:107] offset:41472
	s_waitcnt vmcnt(4)
	ds_write_b128 v26, v[108:111] offset:43200
	s_waitcnt vmcnt(3)
	ds_write_b128 v26, v[112:115] offset:44928
	s_waitcnt vmcnt(2)
	ds_write_b128 v26, v[116:119] offset:46656
	s_waitcnt vmcnt(1)
	ds_write_b128 v26, v[120:123] offset:48384
	s_waitcnt vmcnt(0)
	ds_write_b128 v26, v[124:127] offset:50112
	s_and_saveexec_b64 s[6:7], vcc
	s_cbranch_execz .LBB0_12
; %bb.11:
	v_add_co_u32_e32 v1, vcc, 0xc000, v1
	v_addc_co_u32_e32 v2, vcc, 0, v0, vcc
	global_load_dwordx4 v[0:3], v[1:2], off offset:2688
	v_mov_b32_e32 v28, 0x6b
	s_waitcnt vmcnt(0)
	ds_write_b128 v29, v[0:3] offset:51840
.LBB0_12:
	s_or_b64 exec, exec, s[6:7]
.LBB0_13:
	s_or_b64 exec, exec, s[4:5]
	v_lshlrev_b32_e32 v0, 4, v28
	v_add_u32_e32 v100, 0, v0
	s_waitcnt lgkmcnt(0)
	s_barrier
	v_sub_u32_e32 v12, 0, v0
	ds_read_b64 v[6:7], v100
	ds_read_b64 v[8:9], v12 offset:51840
	s_add_u32 s6, s8, 0xca50
	s_addc_u32 s7, s9, 0
	v_cmp_ne_u32_e32 vcc, 0, v28
                                        ; implicit-def: $vgpr4_vgpr5
	s_waitcnt lgkmcnt(0)
	v_add_f64 v[0:1], v[6:7], v[8:9]
	v_add_f64 v[2:3], v[6:7], -v[8:9]
	s_and_saveexec_b64 s[4:5], vcc
	s_xor_b64 s[4:5], exec, s[4:5]
	s_cbranch_execz .LBB0_15
; %bb.14:
	v_mov_b32_e32 v29, 0
	v_lshlrev_b64 v[0:1], 4, v[28:29]
	v_mov_b32_e32 v2, s7
	v_add_co_u32_e32 v0, vcc, s6, v0
	v_addc_co_u32_e32 v1, vcc, v2, v1, vcc
	global_load_dwordx4 v[2:5], v[0:1], off
	ds_read_b64 v[0:1], v12 offset:51848
	ds_read_b64 v[10:11], v100 offset:8
	v_add_f64 v[13:14], v[6:7], v[8:9]
	v_add_f64 v[8:9], v[6:7], -v[8:9]
	s_waitcnt lgkmcnt(0)
	v_add_f64 v[15:16], v[0:1], v[10:11]
	v_add_f64 v[0:1], v[10:11], -v[0:1]
	s_waitcnt vmcnt(0)
	v_fma_f64 v[6:7], -v[8:9], v[4:5], v[13:14]
	v_fma_f64 v[10:11], v[15:16], v[4:5], -v[0:1]
	v_fma_f64 v[13:14], v[8:9], v[4:5], v[13:14]
	v_fma_f64 v[17:18], v[15:16], v[4:5], v[0:1]
	;; [unrolled: 1-line block ×4, first 2 shown]
	v_fma_f64 v[0:1], -v[15:16], v[2:3], v[13:14]
	v_fma_f64 v[2:3], v[8:9], v[2:3], v[17:18]
	ds_write_b128 v12, v[4:7] offset:51840
	v_mov_b32_e32 v4, v28
	v_mov_b32_e32 v5, v29
.LBB0_15:
	s_andn2_saveexec_b64 s[4:5], s[4:5]
	s_cbranch_execz .LBB0_17
; %bb.16:
	v_mov_b32_e32 v13, 0
	ds_read_b128 v[4:7], v13 offset:25920
	s_waitcnt lgkmcnt(0)
	v_add_f64 v[8:9], v[4:5], v[4:5]
	v_mul_f64 v[10:11], v[6:7], -2.0
	v_mov_b32_e32 v4, 0
	v_mov_b32_e32 v5, 0
	ds_write_b128 v13, v[8:11] offset:25920
.LBB0_17:
	s_or_b64 exec, exec, s[4:5]
	v_lshlrev_b64 v[4:5], 4, v[4:5]
	v_mov_b32_e32 v6, s7
	v_add_co_u32_e32 v4, vcc, s6, v4
	v_addc_co_u32_e32 v5, vcc, v6, v5, vcc
	global_load_dwordx4 v[6:9], v[4:5], off offset:1728
	global_load_dwordx4 v[13:16], v[4:5], off offset:3456
	s_movk_i32 s4, 0x1000
	v_add_co_u32_e32 v25, vcc, s4, v4
	ds_write_b128 v100, v[0:3]
	v_addc_co_u32_e32 v26, vcc, 0, v5, vcc
	ds_read_b128 v[0:3], v100 offset:1728
	ds_read_b128 v[17:20], v12 offset:50112
	global_load_dwordx4 v[21:24], v[25:26], off offset:1088
	s_movk_i32 s26, 0x2000
	s_movk_i32 s4, 0x3000
	;; [unrolled: 1-line block ×3, first 2 shown]
	s_waitcnt lgkmcnt(0)
	v_add_f64 v[10:11], v[0:1], v[17:18]
	v_add_f64 v[32:33], v[19:20], v[2:3]
	v_add_f64 v[17:18], v[0:1], -v[17:18]
	v_add_f64 v[0:1], v[2:3], -v[19:20]
	s_movk_i32 s11, 0xab
	v_add_u16_e32 v104, 0x6c, v28
	s_mov_b32 s6, 0xe8584caa
	s_mov_b32 s7, 0xbfebb67a
	;; [unrolled: 1-line block ×3, first 2 shown]
	v_mad_u32_u24 v99, v28, 48, 0
	v_mov_b32_e32 v29, 5
	v_add_u32_e32 v103, 0x6548, v99
	v_add_u32_e32 v219, 0x6558, v99
	;; [unrolled: 1-line block ×10, first 2 shown]
	s_mov_b32 s10, 0xaaab
	s_mov_b32 s14, 0x134454ff
	;; [unrolled: 1-line block ×15, first 2 shown]
	s_waitcnt vmcnt(2)
	v_fma_f64 v[2:3], v[17:18], v[8:9], v[10:11]
	v_fma_f64 v[19:20], v[32:33], v[8:9], v[0:1]
	v_fma_f64 v[10:11], -v[17:18], v[8:9], v[10:11]
	v_fma_f64 v[34:35], v[32:33], v[8:9], -v[0:1]
	v_fma_f64 v[0:1], -v[32:33], v[6:7], v[2:3]
	v_fma_f64 v[2:3], v[17:18], v[6:7], v[19:20]
	v_fma_f64 v[8:9], v[32:33], v[6:7], v[10:11]
	;; [unrolled: 1-line block ×3, first 2 shown]
	ds_write_b128 v100, v[0:3] offset:1728
	ds_write_b128 v12, v[8:11] offset:50112
	ds_read_b128 v[0:3], v100 offset:3456
	ds_read_b128 v[6:9], v12 offset:48384
	global_load_dwordx4 v[17:20], v[25:26], off offset:2816
	s_waitcnt lgkmcnt(0)
	v_add_f64 v[10:11], v[0:1], v[6:7]
	v_add_f64 v[25:26], v[8:9], v[2:3]
	v_add_f64 v[32:33], v[0:1], -v[6:7]
	v_add_f64 v[0:1], v[2:3], -v[8:9]
	s_waitcnt vmcnt(2)
	v_fma_f64 v[2:3], v[32:33], v[15:16], v[10:11]
	v_fma_f64 v[6:7], v[25:26], v[15:16], v[0:1]
	v_fma_f64 v[8:9], -v[32:33], v[15:16], v[10:11]
	v_fma_f64 v[10:11], v[25:26], v[15:16], -v[0:1]
	v_fma_f64 v[0:1], -v[25:26], v[13:14], v[2:3]
	v_fma_f64 v[2:3], v[32:33], v[13:14], v[6:7]
	v_fma_f64 v[6:7], v[25:26], v[13:14], v[8:9]
	v_fma_f64 v[8:9], v[32:33], v[13:14], v[10:11]
	v_add_co_u32_e32 v10, vcc, s26, v4
	ds_write_b128 v100, v[0:3] offset:3456
	ds_write_b128 v12, v[6:9] offset:48384
	v_addc_co_u32_e32 v11, vcc, 0, v5, vcc
	ds_read_b128 v[0:3], v100 offset:5184
	ds_read_b128 v[6:9], v12 offset:46656
	global_load_dwordx4 v[13:16], v[10:11], off offset:448
	s_waitcnt lgkmcnt(0)
	v_add_f64 v[25:26], v[0:1], v[6:7]
	v_add_f64 v[32:33], v[8:9], v[2:3]
	v_add_f64 v[34:35], v[0:1], -v[6:7]
	v_add_f64 v[0:1], v[2:3], -v[8:9]
	s_waitcnt vmcnt(2)
	v_fma_f64 v[2:3], v[34:35], v[23:24], v[25:26]
	v_fma_f64 v[6:7], v[32:33], v[23:24], v[0:1]
	v_fma_f64 v[8:9], -v[34:35], v[23:24], v[25:26]
	v_fma_f64 v[23:24], v[32:33], v[23:24], -v[0:1]
	v_fma_f64 v[0:1], -v[32:33], v[21:22], v[2:3]
	v_fma_f64 v[2:3], v[34:35], v[21:22], v[6:7]
	v_fma_f64 v[6:7], v[32:33], v[21:22], v[8:9]
	;; [unrolled: 1-line block ×3, first 2 shown]
	ds_write_b128 v100, v[0:3] offset:5184
	ds_write_b128 v12, v[6:9] offset:46656
	ds_read_b128 v[0:3], v100 offset:6912
	ds_read_b128 v[6:9], v12 offset:44928
	global_load_dwordx4 v[21:24], v[10:11], off offset:2176
	s_waitcnt lgkmcnt(0)
	v_add_f64 v[25:26], v[0:1], v[6:7]
	v_add_f64 v[32:33], v[8:9], v[2:3]
	v_add_f64 v[34:35], v[0:1], -v[6:7]
	v_add_f64 v[0:1], v[2:3], -v[8:9]
	s_waitcnt vmcnt(2)
	v_fma_f64 v[2:3], v[34:35], v[19:20], v[25:26]
	v_fma_f64 v[6:7], v[32:33], v[19:20], v[0:1]
	v_fma_f64 v[8:9], -v[34:35], v[19:20], v[25:26]
	v_fma_f64 v[19:20], v[32:33], v[19:20], -v[0:1]
	v_fma_f64 v[0:1], -v[32:33], v[17:18], v[2:3]
	v_fma_f64 v[2:3], v[34:35], v[17:18], v[6:7]
	v_fma_f64 v[6:7], v[32:33], v[17:18], v[8:9]
	;; [unrolled: 1-line block ×3, first 2 shown]
	ds_write_b128 v100, v[0:3] offset:6912
	ds_write_b128 v12, v[6:9] offset:44928
	ds_read_b128 v[0:3], v100 offset:8640
	ds_read_b128 v[6:9], v12 offset:43200
	global_load_dwordx4 v[17:20], v[10:11], off offset:3904
	s_waitcnt lgkmcnt(0)
	v_add_f64 v[10:11], v[0:1], v[6:7]
	v_add_f64 v[25:26], v[8:9], v[2:3]
	v_add_f64 v[32:33], v[0:1], -v[6:7]
	v_add_f64 v[0:1], v[2:3], -v[8:9]
	s_waitcnt vmcnt(2)
	v_fma_f64 v[2:3], v[32:33], v[15:16], v[10:11]
	v_fma_f64 v[6:7], v[25:26], v[15:16], v[0:1]
	v_fma_f64 v[8:9], -v[32:33], v[15:16], v[10:11]
	v_fma_f64 v[10:11], v[25:26], v[15:16], -v[0:1]
	v_fma_f64 v[0:1], -v[25:26], v[13:14], v[2:3]
	v_fma_f64 v[2:3], v[32:33], v[13:14], v[6:7]
	v_fma_f64 v[6:7], v[25:26], v[13:14], v[8:9]
	;; [unrolled: 1-line block ×3, first 2 shown]
	v_add_co_u32_e32 v10, vcc, s4, v4
	ds_write_b128 v100, v[0:3] offset:8640
	ds_write_b128 v12, v[6:9] offset:43200
	v_addc_co_u32_e32 v11, vcc, 0, v5, vcc
	ds_read_b128 v[0:3], v100 offset:10368
	ds_read_b128 v[6:9], v12 offset:41472
	global_load_dwordx4 v[13:16], v[10:11], off offset:1536
	s_movk_i32 s4, 0x5000
	s_waitcnt lgkmcnt(0)
	v_add_f64 v[25:26], v[0:1], v[6:7]
	v_add_f64 v[32:33], v[8:9], v[2:3]
	v_add_f64 v[34:35], v[0:1], -v[6:7]
	v_add_f64 v[0:1], v[2:3], -v[8:9]
	s_waitcnt vmcnt(2)
	v_fma_f64 v[2:3], v[34:35], v[23:24], v[25:26]
	v_fma_f64 v[6:7], v[32:33], v[23:24], v[0:1]
	v_fma_f64 v[8:9], -v[34:35], v[23:24], v[25:26]
	v_fma_f64 v[23:24], v[32:33], v[23:24], -v[0:1]
	v_fma_f64 v[0:1], -v[32:33], v[21:22], v[2:3]
	v_fma_f64 v[2:3], v[34:35], v[21:22], v[6:7]
	v_fma_f64 v[6:7], v[32:33], v[21:22], v[8:9]
	;; [unrolled: 1-line block ×3, first 2 shown]
	ds_write_b128 v100, v[0:3] offset:10368
	ds_write_b128 v12, v[6:9] offset:41472
	ds_read_b128 v[0:3], v100 offset:12096
	ds_read_b128 v[6:9], v12 offset:39744
	global_load_dwordx4 v[21:24], v[10:11], off offset:3264
	s_waitcnt lgkmcnt(0)
	v_add_f64 v[10:11], v[0:1], v[6:7]
	v_add_f64 v[25:26], v[8:9], v[2:3]
	v_add_f64 v[32:33], v[0:1], -v[6:7]
	v_add_f64 v[0:1], v[2:3], -v[8:9]
	s_waitcnt vmcnt(2)
	v_fma_f64 v[2:3], v[32:33], v[19:20], v[10:11]
	v_fma_f64 v[6:7], v[25:26], v[19:20], v[0:1]
	v_fma_f64 v[8:9], -v[32:33], v[19:20], v[10:11]
	v_fma_f64 v[10:11], v[25:26], v[19:20], -v[0:1]
	v_fma_f64 v[0:1], -v[25:26], v[17:18], v[2:3]
	v_fma_f64 v[2:3], v[32:33], v[17:18], v[6:7]
	v_fma_f64 v[6:7], v[25:26], v[17:18], v[8:9]
	;; [unrolled: 1-line block ×3, first 2 shown]
	v_add_co_u32_e32 v10, vcc, s27, v4
	ds_write_b128 v100, v[0:3] offset:12096
	ds_write_b128 v12, v[6:9] offset:39744
	v_addc_co_u32_e32 v11, vcc, 0, v5, vcc
	ds_read_b128 v[0:3], v100 offset:13824
	ds_read_b128 v[6:9], v12 offset:38016
	global_load_dwordx4 v[17:20], v[10:11], off offset:896
	s_waitcnt lgkmcnt(0)
	v_add_f64 v[25:26], v[0:1], v[6:7]
	v_add_f64 v[32:33], v[8:9], v[2:3]
	v_add_f64 v[34:35], v[0:1], -v[6:7]
	v_add_f64 v[0:1], v[2:3], -v[8:9]
	s_waitcnt vmcnt(2)
	v_fma_f64 v[2:3], v[34:35], v[15:16], v[25:26]
	v_fma_f64 v[6:7], v[32:33], v[15:16], v[0:1]
	v_fma_f64 v[8:9], -v[34:35], v[15:16], v[25:26]
	v_fma_f64 v[15:16], v[32:33], v[15:16], -v[0:1]
	v_fma_f64 v[0:1], -v[32:33], v[13:14], v[2:3]
	v_fma_f64 v[2:3], v[34:35], v[13:14], v[6:7]
	v_fma_f64 v[6:7], v[32:33], v[13:14], v[8:9]
	;; [unrolled: 1-line block ×3, first 2 shown]
	ds_write_b128 v100, v[0:3] offset:13824
	ds_write_b128 v12, v[6:9] offset:38016
	ds_read_b128 v[0:3], v100 offset:15552
	ds_read_b128 v[6:9], v12 offset:36288
	global_load_dwordx4 v[13:16], v[10:11], off offset:2624
	s_waitcnt lgkmcnt(0)
	v_add_f64 v[10:11], v[0:1], v[6:7]
	v_add_f64 v[25:26], v[8:9], v[2:3]
	v_add_f64 v[32:33], v[0:1], -v[6:7]
	v_add_f64 v[0:1], v[2:3], -v[8:9]
	s_waitcnt vmcnt(2)
	v_fma_f64 v[2:3], v[32:33], v[23:24], v[10:11]
	v_fma_f64 v[6:7], v[25:26], v[23:24], v[0:1]
	v_fma_f64 v[8:9], -v[32:33], v[23:24], v[10:11]
	v_fma_f64 v[10:11], v[25:26], v[23:24], -v[0:1]
	v_fma_f64 v[0:1], -v[25:26], v[21:22], v[2:3]
	v_fma_f64 v[2:3], v[32:33], v[21:22], v[6:7]
	v_fma_f64 v[6:7], v[25:26], v[21:22], v[8:9]
	;; [unrolled: 1-line block ×3, first 2 shown]
	v_add_co_u32_e32 v25, vcc, s4, v4
	ds_write_b128 v100, v[0:3] offset:15552
	ds_write_b128 v12, v[6:9] offset:36288
	v_addc_co_u32_e32 v26, vcc, 0, v5, vcc
	ds_read_b128 v[0:3], v100 offset:17280
	ds_read_b128 v[6:9], v12 offset:34560
	global_load_dwordx4 v[21:24], v[25:26], off offset:256
	s_mov_b32 s4, s6
	s_waitcnt lgkmcnt(0)
	v_add_f64 v[4:5], v[0:1], v[6:7]
	v_add_f64 v[10:11], v[8:9], v[2:3]
	v_add_f64 v[6:7], v[0:1], -v[6:7]
	v_add_f64 v[0:1], v[2:3], -v[8:9]
	s_waitcnt vmcnt(2)
	v_fma_f64 v[2:3], v[6:7], v[19:20], v[4:5]
	v_fma_f64 v[8:9], v[10:11], v[19:20], v[0:1]
	v_fma_f64 v[4:5], -v[6:7], v[19:20], v[4:5]
	v_fma_f64 v[19:20], v[10:11], v[19:20], -v[0:1]
	v_fma_f64 v[0:1], -v[10:11], v[17:18], v[2:3]
	v_fma_f64 v[2:3], v[6:7], v[17:18], v[8:9]
	v_fma_f64 v[4:5], v[10:11], v[17:18], v[4:5]
	v_fma_f64 v[6:7], v[6:7], v[17:18], v[19:20]
	ds_write_b128 v100, v[0:3] offset:17280
	ds_write_b128 v12, v[4:7] offset:34560
	ds_read_b128 v[0:3], v100 offset:19008
	ds_read_b128 v[4:7], v12 offset:32832
	global_load_dwordx4 v[17:20], v[25:26], off offset:1984
	s_waitcnt lgkmcnt(0)
	v_add_f64 v[8:9], v[0:1], v[4:5]
	v_add_f64 v[10:11], v[6:7], v[2:3]
	v_add_f64 v[32:33], v[0:1], -v[4:5]
	v_add_f64 v[0:1], v[2:3], -v[6:7]
	s_waitcnt vmcnt(2)
	v_fma_f64 v[2:3], v[32:33], v[15:16], v[8:9]
	v_fma_f64 v[4:5], v[10:11], v[15:16], v[0:1]
	v_fma_f64 v[6:7], -v[32:33], v[15:16], v[8:9]
	v_fma_f64 v[8:9], v[10:11], v[15:16], -v[0:1]
	v_fma_f64 v[0:1], -v[10:11], v[13:14], v[2:3]
	v_fma_f64 v[2:3], v[32:33], v[13:14], v[4:5]
	v_fma_f64 v[4:5], v[10:11], v[13:14], v[6:7]
	;; [unrolled: 1-line block ×3, first 2 shown]
	ds_write_b128 v100, v[0:3] offset:19008
	ds_write_b128 v12, v[4:7] offset:32832
	ds_read_b128 v[4:7], v100 offset:20736
	ds_read_b128 v[8:11], v12 offset:31104
	global_load_dwordx4 v[0:3], v[25:26], off offset:3712
	s_waitcnt lgkmcnt(0)
	v_add_f64 v[13:14], v[4:5], v[8:9]
	v_add_f64 v[15:16], v[10:11], v[6:7]
	v_add_f64 v[25:26], v[4:5], -v[8:9]
	v_add_f64 v[4:5], v[6:7], -v[10:11]
	s_waitcnt vmcnt(2)
	v_fma_f64 v[6:7], v[25:26], v[23:24], v[13:14]
	v_fma_f64 v[8:9], v[15:16], v[23:24], v[4:5]
	v_fma_f64 v[10:11], -v[25:26], v[23:24], v[13:14]
	v_fma_f64 v[13:14], v[15:16], v[23:24], -v[4:5]
	v_fma_f64 v[4:5], -v[15:16], v[21:22], v[6:7]
	v_fma_f64 v[6:7], v[25:26], v[21:22], v[8:9]
	v_fma_f64 v[8:9], v[15:16], v[21:22], v[10:11]
	v_fma_f64 v[10:11], v[25:26], v[21:22], v[13:14]
	ds_write_b128 v100, v[4:7] offset:20736
	ds_write_b128 v12, v[8:11] offset:31104
	ds_read_b128 v[4:7], v100 offset:22464
	ds_read_b128 v[8:11], v12 offset:29376
	s_waitcnt lgkmcnt(0)
	v_add_f64 v[13:14], v[4:5], v[8:9]
	v_add_f64 v[15:16], v[10:11], v[6:7]
	v_add_f64 v[21:22], v[4:5], -v[8:9]
	v_add_f64 v[4:5], v[6:7], -v[10:11]
	s_waitcnt vmcnt(1)
	v_fma_f64 v[6:7], v[21:22], v[19:20], v[13:14]
	v_fma_f64 v[8:9], v[15:16], v[19:20], v[4:5]
	v_fma_f64 v[10:11], -v[21:22], v[19:20], v[13:14]
	v_fma_f64 v[13:14], v[15:16], v[19:20], -v[4:5]
	v_mul_lo_u16_sdwa v19, v28, s11 dst_sel:DWORD dst_unused:UNUSED_PAD src0_sel:BYTE_0 src1_sel:DWORD
	v_lshrrev_b16_e32 v49, 9, v19
	v_mul_lo_u16_sdwa v20, v104, s11 dst_sel:DWORD dst_unused:UNUSED_PAD src0_sel:BYTE_0 src1_sel:DWORD
	v_lshrrev_b16_e32 v48, 9, v20
	v_fma_f64 v[4:5], -v[15:16], v[17:18], v[6:7]
	v_fma_f64 v[6:7], v[21:22], v[17:18], v[8:9]
	v_fma_f64 v[8:9], v[15:16], v[17:18], v[10:11]
	;; [unrolled: 1-line block ×3, first 2 shown]
	ds_write_b128 v100, v[4:7] offset:22464
	ds_write_b128 v12, v[8:11] offset:29376
	ds_read_b128 v[4:7], v100 offset:24192
	ds_read_b128 v[8:11], v12 offset:27648
	v_mul_lo_u16_e32 v228, 3, v48
	v_mul_u32_u24_e32 v48, 0x90, v48
	s_mov_b32 s11, 0x3fee6f0e
	s_waitcnt lgkmcnt(0)
	v_add_f64 v[13:14], v[4:5], v[8:9]
	v_add_f64 v[15:16], v[10:11], v[6:7]
	v_add_f64 v[8:9], v[4:5], -v[8:9]
	v_add_f64 v[4:5], v[6:7], -v[10:11]
	s_waitcnt vmcnt(0)
	v_fma_f64 v[6:7], v[8:9], v[2:3], v[13:14]
	v_fma_f64 v[10:11], v[15:16], v[2:3], v[4:5]
	v_fma_f64 v[13:14], -v[8:9], v[2:3], v[13:14]
	v_fma_f64 v[17:18], v[15:16], v[2:3], -v[4:5]
	v_fma_f64 v[2:3], -v[15:16], v[0:1], v[6:7]
	v_fma_f64 v[4:5], v[8:9], v[0:1], v[10:11]
	v_fma_f64 v[6:7], v[15:16], v[0:1], v[13:14]
	;; [unrolled: 1-line block ×3, first 2 shown]
	v_mul_lo_u16_e32 v0, 3, v49
	v_sub_u16_e32 v50, v28, v0
	ds_write_b128 v100, v[2:5] offset:24192
	ds_write_b128 v12, v[6:9] offset:27648
	s_waitcnt lgkmcnt(0)
	s_barrier
	s_barrier
	ds_read_b128 v[0:3], v100 offset:1728
	ds_read_b128 v[4:7], v100 offset:3456
	;; [unrolled: 1-line block ×28, first 2 shown]
	ds_read_b128 v[125:128], v100
	ds_read_b128 v[129:132], v100 offset:50112
	s_waitcnt lgkmcnt(14)
	v_add_f64 v[139:140], v[0:1], v[8:9]
	s_waitcnt lgkmcnt(3)
	v_add_f64 v[135:136], v[109:110], v[117:118]
	v_add_f64 v[137:138], v[111:112], -v[119:120]
	s_waitcnt lgkmcnt(1)
	v_add_f64 v[133:134], v[127:128], v[111:112]
	v_add_f64 v[111:112], v[111:112], v[119:120]
	;; [unrolled: 1-line block ×10, first 2 shown]
	v_add_f64 v[169:170], v[38:39], -v[46:47]
	v_add_f64 v[171:172], v[38:39], v[46:47]
	v_add_f64 v[173:174], v[36:37], -v[44:45]
	v_add_f64 v[36:37], v[32:33], v[40:41]
	v_add_f64 v[38:39], v[34:35], v[42:43]
	;; [unrolled: 1-line block ×6, first 2 shown]
	v_add_f64 v[109:110], v[109:110], -v[117:118]
	v_add_f64 v[145:146], v[10:11], -v[18:19]
	;; [unrolled: 1-line block ×5, first 2 shown]
	v_add_f64 v[175:176], v[40:41], v[51:52]
	v_add_f64 v[177:178], v[42:43], -v[53:54]
	v_add_f64 v[42:43], v[42:43], v[53:54]
	v_add_f64 v[179:180], v[40:41], -v[51:52]
	v_add_f64 v[40:41], v[55:56], v[63:64]
	v_add_f64 v[181:182], v[57:58], v[65:66]
	v_add_f64 v[185:186], v[65:66], -v[73:74]
	v_add_f64 v[65:66], v[65:66], v[73:74]
	v_add_f64 v[187:188], v[63:64], -v[71:72]
	v_add_f64 v[63:64], v[59:60], v[67:68]
	v_add_f64 v[189:190], v[61:62], v[69:70]
	;; [unrolled: 1-line block ×3, first 2 shown]
	v_add_f64 v[193:194], v[69:70], -v[77:78]
	v_add_f64 v[69:70], v[69:70], v[77:78]
	v_add_f64 v[199:200], v[87:88], v[95:96]
	;; [unrolled: 1-line block ×5, first 2 shown]
	s_waitcnt lgkmcnt(0)
	v_add_f64 v[215:216], v[121:122], v[129:130]
	v_add_f64 v[217:218], v[123:124], v[131:132]
	;; [unrolled: 1-line block ×8, first 2 shown]
	v_fma_f64 v[44:45], v[135:136], -0.5, v[125:126]
	v_fma_f64 v[46:47], v[111:112], -0.5, v[127:128]
	v_add_f64 v[36:37], v[36:37], v[51:52]
	v_add_f64 v[38:39], v[38:39], v[53:54]
	v_fma_f64 v[51:52], v[143:144], -0.5, v[0:1]
	v_fma_f64 v[53:54], v[147:148], -0.5, v[2:3]
	v_add_f64 v[8:9], v[101:102], v[117:118]
	v_fma_f64 v[101:102], v[155:156], -0.5, v[4:5]
	v_fma_f64 v[111:112], v[159:160], -0.5, v[6:7]
	;; [unrolled: 3-line block ×3, first 2 shown]
	v_fma_f64 v[133:134], v[183:184], -0.5, v[55:56]
	v_add_f64 v[67:68], v[67:68], -v[75:76]
	v_add_f64 v[195:196], v[79:80], v[87:88]
	v_add_f64 v[197:198], v[81:82], v[89:90]
	v_add_f64 v[89:90], v[89:90], -v[97:98]
	v_add_f64 v[87:88], v[87:88], -v[95:96]
	v_add_f64 v[203:204], v[83:84], v[91:92]
	v_add_f64 v[205:206], v[85:86], v[93:94]
	v_add_f64 v[93:94], v[93:94], -v[107:108]
	v_add_f64 v[91:92], v[91:92], -v[105:106]
	v_add_f64 v[211:212], v[113:114], v[121:122]
	v_add_f64 v[213:214], v[115:116], v[123:124]
	v_add_f64 v[123:124], v[123:124], -v[131:132]
	v_add_f64 v[121:122], v[121:122], -v[129:130]
	v_fma_f64 v[125:126], v[175:176], -0.5, v[32:33]
	v_fma_f64 v[127:128], v[42:43], -0.5, v[34:35]
	;; [unrolled: 1-line block ×3, first 2 shown]
	v_add_f64 v[75:76], v[63:64], v[75:76]
	v_fma_f64 v[139:140], v[191:192], -0.5, v[59:60]
	v_fma_f64 v[69:70], v[69:70], -0.5, v[61:62]
	v_fma_f64 v[79:80], v[199:200], -0.5, v[79:80]
	v_fma_f64 v[81:82], v[201:202], -0.5, v[81:82]
	v_fma_f64 v[83:84], v[207:208], -0.5, v[83:84]
	v_fma_f64 v[85:86], v[209:210], -0.5, v[85:86]
	v_fma_f64 v[113:114], v[215:216], -0.5, v[113:114]
	v_fma_f64 v[115:116], v[217:218], -0.5, v[115:116]
	v_fma_f64 v[0:1], v[137:138], s[6:7], v[44:45]
	v_fma_f64 v[2:3], v[109:110], s[4:5], v[46:47]
	;; [unrolled: 1-line block ×8, first 2 shown]
	v_add_f64 v[71:72], v[40:41], v[71:72]
	v_fma_f64 v[40:41], v[157:158], s[6:7], v[101:102]
	v_fma_f64 v[42:43], v[161:162], s[4:5], v[111:112]
	;; [unrolled: 1-line block ×6, first 2 shown]
	v_lshlrev_b32_sdwa v229, v29, v50 dst_sel:DWORD dst_unused:UNUSED_PAD src0_sel:DWORD src1_sel:BYTE_0
	s_barrier
	v_fma_f64 v[55:56], v[169:170], s[4:5], v[117:118]
	v_fma_f64 v[57:58], v[173:174], s[6:7], v[119:120]
	ds_write_b128 v99, v[8:11]
	ds_write_b128 v99, v[12:15] offset:5184
	ds_write_b128 v99, v[16:19] offset:10368
	;; [unrolled: 1-line block ×4, first 2 shown]
	ds_write_b64 v99, v[71:72] offset:25920
	v_fma_f64 v[8:9], v[185:186], s[6:7], v[133:134]
	v_fma_f64 v[10:11], v[185:186], s[4:5], v[133:134]
	v_add_f64 v[73:74], v[181:182], v[73:74]
	v_add_f64 v[77:78], v[189:190], v[77:78]
	v_add_f64 v[95:96], v[195:196], v[95:96]
	v_add_f64 v[97:98], v[197:198], v[97:98]
	v_add_f64 v[105:106], v[203:204], v[105:106]
	v_add_f64 v[107:108], v[205:206], v[107:108]
	v_add_f64 v[129:130], v[211:212], v[129:130]
	v_add_f64 v[131:132], v[213:214], v[131:132]
	v_fma_f64 v[59:60], v[177:178], s[6:7], v[125:126]
	v_fma_f64 v[63:64], v[177:178], s[4:5], v[125:126]
	;; [unrolled: 1-line block ×6, first 2 shown]
	ds_write_b64 v99, v[75:76] offset:31104
	v_fma_f64 v[16:17], v[193:194], s[6:7], v[139:140]
	v_fma_f64 v[18:19], v[193:194], s[4:5], v[139:140]
	;; [unrolled: 1-line block ×16, first 2 shown]
	ds_write_b128 v99, v[0:3] offset:16
	ds_write_b128 v99, v[4:7] offset:32
	;; [unrolled: 1-line block ×10, first 2 shown]
	ds_write2_b64 v103, v[73:74], v[8:9] offset1:1
	ds_write2_b64 v219, v[12:13], v[10:11] offset1:1
	ds_write_b64 v99, v[14:15] offset:25960
	ds_write2_b64 v220, v[77:78], v[16:17] offset1:1
	ds_write2_b64 v221, v[20:21], v[18:19] offset1:1
	ds_write_b64 v99, v[22:23] offset:31144
	ds_write_b64 v99, v[95:96] offset:36288
	ds_write2_b64 v222, v[97:98], v[36:37] offset1:1
	ds_write2_b64 v223, v[67:68], v[38:39] offset1:1
	ds_write_b64 v99, v[69:70] offset:36328
	;; [unrolled: 4-line block ×4, first 2 shown]
	s_waitcnt lgkmcnt(0)
	s_barrier
	global_load_dwordx4 v[8:11], v229, s[8:9] offset:16
	v_sub_u16_e32 v54, v104, v228
	v_lshlrev_b32_sdwa v0, v29, v54 dst_sel:DWORD dst_unused:UNUSED_PAD src0_sel:DWORD src1_sel:BYTE_0
	v_add_u32_e32 v105, 0xd8, v28
	global_load_dwordx4 v[4:7], v229, s[8:9]
	global_load_dwordx4 v[12:15], v0, s[8:9]
	global_load_dwordx4 v[16:19], v0, s[8:9] offset:16
	v_mul_u32_u24_sdwa v0, v105, s10 dst_sel:DWORD dst_unused:UNUSED_PAD src0_sel:WORD_0 src1_sel:DWORD
	v_lshrrev_b32_e32 v55, 17, v0
	v_mul_lo_u16_e32 v0, 3, v55
	v_sub_u16_e32 v53, v105, v0
	v_lshlrev_b32_e32 v0, 5, v53
	global_load_dwordx4 v[20:23], v0, s[8:9]
	global_load_dwordx4 v[24:27], v0, s[8:9] offset:16
	v_add_u32_e32 v101, 0x144, v28
	v_mul_u32_u24_sdwa v1, v101, s10 dst_sel:DWORD dst_unused:UNUSED_PAD src0_sel:WORD_0 src1_sel:DWORD
	v_lshrrev_b32_e32 v52, 17, v1
	v_mul_lo_u16_e32 v1, 3, v52
	v_add_u32_e32 v102, 0x1b0, v28
	v_sub_u16_e32 v51, v101, v1
	v_mul_u32_u24_sdwa v40, v102, s10 dst_sel:DWORD dst_unused:UNUSED_PAD src0_sel:WORD_0 src1_sel:DWORD
	v_lshlrev_b32_e32 v0, 5, v51
	v_lshrrev_b32_e32 v61, 17, v40
	global_load_dwordx4 v[32:35], v0, s[8:9]
	global_load_dwordx4 v[36:39], v0, s[8:9] offset:16
	v_mul_lo_u16_e32 v0, 3, v61
	v_sub_u16_e32 v60, v102, v0
	v_lshlrev_b32_e32 v0, 5, v60
	global_load_dwordx4 v[40:43], v0, s[8:9]
	global_load_dwordx4 v[44:47], v0, s[8:9] offset:16
	v_add_u32_e32 v1, 0x21c, v28
	v_mul_u32_u24_sdwa v56, v1, s10 dst_sel:DWORD dst_unused:UNUSED_PAD src0_sel:WORD_0 src1_sel:DWORD
	v_lshrrev_b32_e32 v67, 17, v56
	v_add_u32_e32 v2, 0x288, v28
	v_mul_lo_u16_e32 v56, 3, v67
	v_mul_u32_u24_sdwa v58, v2, s10 dst_sel:DWORD dst_unused:UNUSED_PAD src0_sel:WORD_0 src1_sel:DWORD
	v_sub_u16_e32 v66, v1, v56
	v_lshlrev_b32_e32 v1, 5, v66
	v_lshrrev_b32_e32 v64, 17, v58
	global_load_dwordx4 v[68:71], v1, s[8:9]
	global_load_dwordx4 v[72:75], v1, s[8:9] offset:16
	v_mul_lo_u16_e32 v58, 3, v64
	v_sub_u16_e32 v65, v2, v58
	v_lshlrev_b32_e32 v1, 5, v65
	global_load_dwordx4 v[76:79], v1, s[8:9]
	global_load_dwordx4 v[80:83], v1, s[8:9] offset:16
	v_add_u32_e32 v3, 0x2f4, v28
	v_add_u32_e32 v57, 0x360, v28
	v_mul_u32_u24_sdwa v0, v3, s10 dst_sel:DWORD dst_unused:UNUSED_PAD src0_sel:WORD_0 src1_sel:DWORD
	v_add_u32_e32 v84, 0x3cc, v28
	v_mul_u32_u24_sdwa v59, v57, s10 dst_sel:DWORD dst_unused:UNUSED_PAD src0_sel:WORD_0 src1_sel:DWORD
	v_lshrrev_b32_e32 v63, 17, v0
	v_mul_u32_u24_sdwa v56, v84, s10 dst_sel:DWORD dst_unused:UNUSED_PAD src0_sel:WORD_0 src1_sel:DWORD
	v_lshrrev_b32_e32 v58, 17, v59
	v_mul_lo_u16_e32 v0, 3, v63
	v_lshrrev_b32_e32 v56, 17, v56
	v_mul_lo_u16_e32 v1, 3, v58
	v_sub_u16_e32 v62, v3, v0
	v_mul_lo_u16_e32 v2, 3, v56
	v_sub_u16_e32 v59, v57, v1
	v_lshlrev_b32_e32 v0, 5, v62
	v_sub_u16_e32 v57, v84, v2
	v_lshlrev_b32_e32 v1, 5, v59
	global_load_dwordx4 v[84:87], v0, s[8:9]
	ds_read_b128 v[88:91], v100 offset:17280
	ds_read_b128 v[92:95], v100 offset:19008
	;; [unrolled: 1-line block ×3, first 2 shown]
	global_load_dwordx4 v[106:109], v0, s[8:9] offset:16
	global_load_dwordx4 v[110:113], v1, s[8:9]
	ds_read_b128 v[114:117], v100 offset:36288
	ds_read_b128 v[118:121], v100 offset:38016
	global_load_dwordx4 v[122:125], v1, s[8:9] offset:16
	v_lshlrev_b32_e32 v2, 5, v57
	ds_read_b128 v[126:129], v100 offset:22464
	ds_read_b128 v[130:133], v100 offset:24192
	global_load_dwordx4 v[134:137], v2, s[8:9]
	global_load_dwordx4 v[138:141], v2, s[8:9] offset:16
	ds_read_b128 v[142:145], v100 offset:34560
	ds_read_b128 v[146:149], v100 offset:32832
	;; [unrolled: 1-line block ×3, first 2 shown]
	v_mov_b32_e32 v103, 4
	v_mul_u32_u24_e32 v49, 0x90, v49
	v_lshlrev_b32_sdwa v50, v103, v50 dst_sel:DWORD dst_unused:UNUSED_PAD src0_sel:DWORD src1_sel:BYTE_0
	v_lshlrev_b32_sdwa v54, v103, v54 dst_sel:DWORD dst_unused:UNUSED_PAD src0_sel:DWORD src1_sel:BYTE_0
	v_add3_u32 v54, 0, v48, v54
	v_lshlrev_b32_e32 v53, 4, v53
	v_lshlrev_b32_e32 v51, 4, v51
	v_mul_u32_u24_e32 v61, 0x90, v61
	s_waitcnt vmcnt(19) lgkmcnt(2)
	v_mul_f64 v[152:153], v[144:145], v[10:11]
	v_mul_f64 v[10:11], v[142:143], v[10:11]
	v_lshlrev_b32_e32 v60, 4, v60
	s_mov_b32 s10, 0xe38f
	s_waitcnt vmcnt(18)
	v_mul_f64 v[150:151], v[90:91], v[6:7]
	v_mul_f64 v[6:7], v[88:89], v[6:7]
	s_waitcnt vmcnt(17)
	v_mul_f64 v[154:155], v[94:95], v[14:15]
	v_mul_f64 v[14:15], v[92:93], v[14:15]
	v_fma_f64 v[142:143], v[142:143], v[8:9], v[152:153]
	v_fma_f64 v[144:145], v[144:145], v[8:9], -v[10:11]
	s_waitcnt vmcnt(16)
	v_mul_f64 v[156:157], v[116:117], v[18:19]
	v_mul_f64 v[18:19], v[114:115], v[18:19]
	s_waitcnt vmcnt(15)
	v_mul_f64 v[8:9], v[98:99], v[22:23]
	v_mul_f64 v[10:11], v[96:97], v[22:23]
	v_fma_f64 v[88:89], v[88:89], v[4:5], v[150:151]
	v_fma_f64 v[90:91], v[90:91], v[4:5], -v[6:7]
	v_fma_f64 v[150:151], v[92:93], v[12:13], v[154:155]
	v_fma_f64 v[152:153], v[94:95], v[12:13], -v[14:15]
	s_waitcnt vmcnt(14)
	v_mul_f64 v[12:13], v[120:121], v[26:27]
	v_mul_f64 v[14:15], v[118:119], v[26:27]
	ds_read_b128 v[4:7], v100 offset:39744
	v_fma_f64 v[158:159], v[96:97], v[20:21], v[8:9]
	v_fma_f64 v[160:161], v[98:99], v[20:21], -v[10:11]
	ds_read_b128 v[8:11], v100 offset:41472
	v_fma_f64 v[154:155], v[114:115], v[16:17], v[156:157]
	s_waitcnt vmcnt(12) lgkmcnt(1)
	v_mul_f64 v[20:21], v[6:7], v[38:39]
	v_mul_f64 v[22:23], v[4:5], v[38:39]
	v_fma_f64 v[156:157], v[116:117], v[16:17], -v[18:19]
	v_mul_f64 v[16:17], v[128:129], v[34:35]
	v_mul_f64 v[18:19], v[126:127], v[34:35]
	v_fma_f64 v[118:119], v[118:119], v[24:25], v[12:13]
	v_fma_f64 v[120:121], v[120:121], v[24:25], -v[14:15]
	s_waitcnt vmcnt(11)
	v_mul_f64 v[12:13], v[132:133], v[42:43]
	v_mul_f64 v[14:15], v[130:131], v[42:43]
	v_fma_f64 v[162:163], v[4:5], v[36:37], v[20:21]
	v_fma_f64 v[164:165], v[6:7], v[36:37], -v[22:23]
	s_waitcnt vmcnt(10) lgkmcnt(0)
	v_mul_f64 v[20:21], v[10:11], v[46:47]
	v_mul_f64 v[24:25], v[8:9], v[46:47]
	ds_read_b128 v[4:7], v100 offset:25920
	v_fma_f64 v[126:127], v[126:127], v[32:33], v[16:17]
	v_fma_f64 v[128:129], v[128:129], v[32:33], -v[18:19]
	v_fma_f64 v[130:131], v[130:131], v[40:41], v[12:13]
	v_fma_f64 v[132:133], v[132:133], v[40:41], -v[14:15]
	ds_read_b128 v[12:15], v100 offset:27648
	ds_read_b128 v[16:19], v100 offset:43200
	s_waitcnt vmcnt(9) lgkmcnt(2)
	v_mul_f64 v[26:27], v[6:7], v[70:71]
	v_mul_f64 v[32:33], v[4:5], v[70:71]
	v_fma_f64 v[166:167], v[8:9], v[44:45], v[20:21]
	ds_read_b128 v[20:23], v100 offset:44928
	s_waitcnt vmcnt(8) lgkmcnt(1)
	v_mul_f64 v[8:9], v[18:19], v[74:75]
	v_mul_f64 v[34:35], v[16:17], v[74:75]
	v_fma_f64 v[168:169], v[10:11], v[44:45], -v[24:25]
	s_waitcnt vmcnt(7)
	v_mul_f64 v[10:11], v[14:15], v[78:79]
	v_mul_f64 v[24:25], v[12:13], v[78:79]
	v_fma_f64 v[40:41], v[4:5], v[68:69], v[26:27]
	v_fma_f64 v[46:47], v[6:7], v[68:69], -v[32:33]
	ds_read_b128 v[4:7], v100 offset:29376
	s_waitcnt vmcnt(6) lgkmcnt(1)
	v_mul_f64 v[26:27], v[22:23], v[82:83]
	v_fma_f64 v[42:43], v[16:17], v[72:73], v[8:9]
	v_fma_f64 v[44:45], v[18:19], v[72:73], -v[34:35]
	v_fma_f64 v[34:35], v[12:13], v[76:77], v[10:11]
	v_fma_f64 v[38:39], v[14:15], v[76:77], -v[24:25]
	ds_read_b128 v[8:11], v100 offset:31104
	ds_read_b128 v[12:15], v100 offset:46656
	v_mul_f64 v[16:17], v[20:21], v[82:83]
	s_waitcnt vmcnt(5) lgkmcnt(2)
	v_mul_f64 v[18:19], v[6:7], v[86:87]
	v_fma_f64 v[32:33], v[20:21], v[80:81], v[26:27]
	s_waitcnt vmcnt(3) lgkmcnt(1)
	v_mul_f64 v[74:75], v[8:9], v[112:113]
	s_waitcnt lgkmcnt(0)
	v_mul_f64 v[20:21], v[14:15], v[108:109]
	ds_read_b128 v[68:71], v100 offset:48384
	v_mul_f64 v[24:25], v[12:13], v[108:109]
	v_mul_f64 v[72:73], v[10:11], v[112:113]
	v_fma_f64 v[36:37], v[22:23], v[80:81], -v[16:17]
	v_mul_f64 v[16:17], v[4:5], v[86:87]
	v_fma_f64 v[22:23], v[4:5], v[84:85], v[18:19]
	v_fma_f64 v[18:19], v[10:11], v[110:111], -v[74:75]
	v_fma_f64 v[20:21], v[12:13], v[106:107], v[20:21]
	ds_read_b128 v[10:13], v100 offset:50112
	s_waitcnt vmcnt(2) lgkmcnt(1)
	v_mul_f64 v[76:77], v[70:71], v[124:125]
	v_mul_f64 v[78:79], v[68:69], v[124:125]
	v_add_f64 v[74:75], v[90:91], v[144:145]
	v_fma_f64 v[26:27], v[6:7], v[84:85], -v[16:17]
	v_add_f64 v[16:17], v[88:89], v[142:143]
	v_fma_f64 v[24:25], v[14:15], v[106:107], -v[24:25]
	v_fma_f64 v[4:5], v[8:9], v[110:111], v[72:73]
	s_waitcnt vmcnt(1)
	v_mul_f64 v[72:73], v[146:147], v[136:137]
	v_fma_f64 v[8:9], v[68:69], v[122:123], v[76:77]
	v_fma_f64 v[14:15], v[70:71], v[122:123], -v[78:79]
	ds_read_b128 v[68:71], v100
	s_waitcnt vmcnt(0) lgkmcnt(1)
	v_mul_f64 v[76:77], v[12:13], v[140:141]
	v_mul_f64 v[78:79], v[10:11], v[140:141]
	v_add_f64 v[84:85], v[90:91], -v[144:145]
	v_mul_f64 v[6:7], v[148:149], v[136:137]
	s_waitcnt lgkmcnt(0)
	v_fma_f64 v[80:81], v[16:17], -0.5, v[68:69]
	v_add_f64 v[82:83], v[70:71], v[90:91]
	v_add_f64 v[68:69], v[68:69], v[88:89]
	v_fma_f64 v[86:87], v[74:75], -0.5, v[70:71]
	v_add_f64 v[88:89], v[88:89], -v[142:143]
	v_add3_u32 v136, 0, v49, v50
	v_add_f64 v[49:50], v[150:151], v[154:155]
	v_fma_f64 v[16:17], v[148:149], v[134:135], -v[72:73]
	v_fma_f64 v[10:11], v[10:11], v[138:139], v[76:77]
	v_fma_f64 v[12:13], v[12:13], v[138:139], -v[78:79]
	v_add_f64 v[70:71], v[82:83], v[144:145]
	v_fma_f64 v[72:73], v[84:85], s[6:7], v[80:81]
	v_fma_f64 v[76:77], v[84:85], s[4:5], v[80:81]
	;; [unrolled: 1-line block ×4, first 2 shown]
	ds_read_b128 v[80:83], v100 offset:1728
	ds_read_b128 v[84:87], v100 offset:3456
	;; [unrolled: 1-line block ×4, first 2 shown]
	v_fma_f64 v[6:7], v[146:147], v[134:135], v[6:7]
	v_add_f64 v[68:69], v[68:69], v[142:143]
	v_add_f64 v[122:123], v[152:153], v[156:157]
	s_waitcnt lgkmcnt(3)
	v_fma_f64 v[49:50], v[49:50], -0.5, v[80:81]
	v_add_f64 v[134:135], v[152:153], -v[156:157]
	ds_read_b128 v[96:99], v100 offset:8640
	ds_read_b128 v[106:109], v100 offset:10368
	;; [unrolled: 1-line block ×4, first 2 shown]
	s_waitcnt lgkmcnt(0)
	s_barrier
	v_add_f64 v[124:125], v[82:83], v[152:153]
	v_add_f64 v[80:81], v[80:81], v[150:151]
	ds_write_b128 v136, v[68:71]
	v_fma_f64 v[82:83], v[122:123], -0.5, v[82:83]
	v_add_f64 v[122:123], v[150:151], -v[154:155]
	ds_write_b128 v136, v[72:75] offset:48
	ds_write_b128 v136, v[76:79] offset:96
	v_fma_f64 v[72:73], v[134:135], s[6:7], v[49:50]
	v_fma_f64 v[76:77], v[134:135], s[4:5], v[49:50]
	v_add_f64 v[49:50], v[160:161], v[120:121]
	v_add_f64 v[70:71], v[124:125], v[156:157]
	;; [unrolled: 1-line block ×4, first 2 shown]
	v_fma_f64 v[74:75], v[122:123], s[4:5], v[82:83]
	v_fma_f64 v[78:79], v[122:123], s[6:7], v[82:83]
	v_add_f64 v[82:83], v[86:87], v[160:161]
	v_add_f64 v[122:123], v[160:161], -v[120:121]
	v_fma_f64 v[48:49], v[49:50], -0.5, v[86:87]
	v_add_f64 v[86:87], v[158:159], -v[118:119]
	ds_write_b128 v54, v[68:71]
	ds_write_b128 v54, v[72:75] offset:48
	ds_write_b128 v54, v[76:79] offset:96
	v_fma_f64 v[80:81], v[80:81], -0.5, v[84:85]
	v_add_f64 v[84:85], v[84:85], v[158:159]
	v_add_f64 v[70:71], v[82:83], v[120:121]
	;; [unrolled: 1-line block ×3, first 2 shown]
	v_mul_u32_u24_e32 v50, 0x90, v55
	v_fma_f64 v[74:75], v[86:87], s[4:5], v[48:49]
	v_fma_f64 v[78:79], v[86:87], s[6:7], v[48:49]
	v_add_f64 v[48:49], v[128:129], v[164:165]
	v_fma_f64 v[72:73], v[122:123], s[6:7], v[80:81]
	v_add_f64 v[68:69], v[84:85], v[118:119]
	v_fma_f64 v[76:77], v[122:123], s[4:5], v[80:81]
	v_add3_u32 v50, 0, v50, v53
	v_fma_f64 v[53:54], v[82:83], -0.5, v[88:89]
	v_add_f64 v[80:81], v[90:91], v[128:129]
	v_add_f64 v[82:83], v[88:89], v[126:127]
	v_add_f64 v[84:85], v[128:129], -v[164:165]
	v_fma_f64 v[48:49], v[48:49], -0.5, v[90:91]
	v_add_f64 v[86:87], v[126:127], -v[162:163]
	ds_write_b128 v50, v[68:71]
	ds_write_b128 v50, v[72:75] offset:48
	ds_write_b128 v50, v[76:79] offset:96
	v_mul_u32_u24_e32 v50, 0x90, v52
	v_add_f64 v[70:71], v[80:81], v[164:165]
	v_add_f64 v[68:69], v[82:83], v[162:163]
	v_fma_f64 v[72:73], v[84:85], s[6:7], v[53:54]
	v_add_f64 v[80:81], v[130:131], v[166:167]
	v_fma_f64 v[74:75], v[86:87], s[4:5], v[48:49]
	v_fma_f64 v[78:79], v[86:87], s[6:7], v[48:49]
	v_add_f64 v[48:49], v[132:133], v[168:169]
	v_fma_f64 v[76:77], v[84:85], s[4:5], v[53:54]
	v_add3_u32 v84, 0, v50, v51
	v_add_f64 v[50:51], v[94:95], v[132:133]
	v_add_f64 v[52:53], v[92:93], v[130:131]
	v_fma_f64 v[54:55], v[80:81], -0.5, v[92:93]
	v_add_f64 v[80:81], v[132:133], -v[168:169]
	ds_write_b128 v84, v[68:71]
	v_fma_f64 v[70:71], v[48:49], -0.5, v[94:95]
	v_add_f64 v[82:83], v[130:131], -v[166:167]
	ds_write_b128 v84, v[72:75] offset:48
	ds_write_b128 v84, v[76:79] offset:96
	v_add_f64 v[72:73], v[40:41], v[42:43]
	v_add_f64 v[74:75], v[46:47], v[44:45]
	;; [unrolled: 1-line block ×4, first 2 shown]
	v_fma_f64 v[52:53], v[80:81], s[6:7], v[54:55]
	v_fma_f64 v[68:69], v[80:81], s[4:5], v[54:55]
	;; [unrolled: 1-line block ×3, first 2 shown]
	v_add3_u32 v80, 0, v61, v60
	v_fma_f64 v[60:61], v[72:73], -0.5, v[96:97]
	v_add_f64 v[72:73], v[98:99], v[46:47]
	v_add_f64 v[76:77], v[96:97], v[40:41]
	v_fma_f64 v[74:75], v[74:75], -0.5, v[98:99]
	v_add_f64 v[40:41], v[40:41], -v[42:43]
	v_fma_f64 v[70:71], v[82:83], s[6:7], v[70:71]
	v_add_f64 v[78:79], v[46:47], -v[44:45]
	ds_write_b128 v80, v[48:51]
	ds_write_b128 v80, v[52:55] offset:48
	ds_write_b128 v80, v[68:71] offset:96
	v_add_f64 v[44:45], v[72:73], v[44:45]
	v_add_f64 v[42:43], v[76:77], v[42:43]
	;; [unrolled: 1-line block ×3, first 2 shown]
	v_fma_f64 v[48:49], v[40:41], s[4:5], v[74:75]
	v_fma_f64 v[52:53], v[40:41], s[6:7], v[74:75]
	v_add_f64 v[40:41], v[38:39], v[36:37]
	v_fma_f64 v[46:47], v[78:79], s[6:7], v[60:61]
	v_fma_f64 v[50:51], v[78:79], s[4:5], v[60:61]
	v_mul_u32_u24_e32 v60, 0x90, v67
	v_lshlrev_b32_e32 v61, 4, v66
	v_add3_u32 v68, 0, v60, v61
	v_fma_f64 v[54:55], v[54:55], -0.5, v[106:107]
	v_add_f64 v[60:61], v[108:109], v[38:39]
	v_add_f64 v[38:39], v[38:39], -v[36:37]
	ds_write_b128 v68, v[42:45]
	v_fma_f64 v[42:43], v[40:41], -0.5, v[108:109]
	v_add_f64 v[44:45], v[34:35], -v[32:33]
	v_add_f64 v[66:67], v[106:107], v[34:35]
	ds_write_b128 v68, v[46:49] offset:48
	ds_write_b128 v68, v[50:53] offset:96
	v_add_f64 v[46:47], v[22:23], v[20:21]
	v_add_f64 v[34:35], v[60:61], v[36:37]
	v_fma_f64 v[36:37], v[38:39], s[6:7], v[54:55]
	v_fma_f64 v[40:41], v[38:39], s[4:5], v[54:55]
	v_mul_u32_u24_e32 v48, 0x90, v64
	v_fma_f64 v[38:39], v[44:45], s[4:5], v[42:43]
	v_fma_f64 v[42:43], v[44:45], s[6:7], v[42:43]
	v_add_f64 v[44:45], v[26:27], v[24:25]
	v_lshlrev_b32_e32 v49, 4, v65
	v_add3_u32 v54, 0, v48, v49
	v_add_f64 v[48:49], v[112:113], v[26:27]
	v_add_f64 v[50:51], v[110:111], v[22:23]
	;; [unrolled: 1-line block ×3, first 2 shown]
	v_fma_f64 v[46:47], v[46:47], -0.5, v[110:111]
	v_add_f64 v[26:27], v[26:27], -v[24:25]
	v_fma_f64 v[44:45], v[44:45], -0.5, v[112:113]
	v_add_f64 v[52:53], v[22:23], -v[20:21]
	ds_write_b128 v54, v[32:35]
	ds_write_b128 v54, v[36:39] offset:48
	ds_write_b128 v54, v[40:43] offset:96
	v_add_f64 v[22:23], v[48:49], v[24:25]
	v_add_f64 v[20:21], v[50:51], v[20:21]
	v_fma_f64 v[24:25], v[26:27], s[6:7], v[46:47]
	v_fma_f64 v[32:33], v[26:27], s[4:5], v[46:47]
	;; [unrolled: 1-line block ×3, first 2 shown]
	v_mul_u32_u24_e32 v38, 0x90, v63
	v_lshlrev_b32_e32 v39, 4, v62
	v_add3_u32 v40, 0, v38, v39
	v_fma_f64 v[34:35], v[52:53], s[6:7], v[44:45]
	v_add_f64 v[36:37], v[4:5], v[8:9]
	ds_write_b128 v40, v[20:23]
	v_add_f64 v[20:21], v[18:19], v[14:15]
	v_add_f64 v[22:23], v[116:117], v[18:19]
	ds_write_b128 v40, v[24:27] offset:48
	v_add_f64 v[24:25], v[114:115], v[4:5]
	v_add_f64 v[38:39], v[6:7], v[10:11]
	ds_write_b128 v40, v[32:35] offset:96
	v_fma_f64 v[26:27], v[36:37], -0.5, v[114:115]
	v_add_f64 v[36:37], v[18:19], -v[14:15]
	v_fma_f64 v[32:33], v[20:21], -0.5, v[116:117]
	v_add_f64 v[20:21], v[22:23], v[14:15]
	v_add_f64 v[14:15], v[16:17], v[12:13]
	;; [unrolled: 1-line block ×3, first 2 shown]
	v_add_f64 v[8:9], v[4:5], -v[8:9]
	v_add_f64 v[24:25], v[2:3], v[16:17]
	v_add_f64 v[34:35], v[0:1], v[6:7]
	v_fma_f64 v[22:23], v[38:39], -0.5, v[0:1]
	v_add_f64 v[16:17], v[16:17], -v[12:13]
	v_add_f64 v[40:41], v[6:7], -v[10:11]
	v_fma_f64 v[38:39], v[14:15], -0.5, v[2:3]
	v_fma_f64 v[4:5], v[36:37], s[6:7], v[26:27]
	v_fma_f64 v[6:7], v[8:9], s[4:5], v[32:33]
	;; [unrolled: 1-line block ×4, first 2 shown]
	v_add_f64 v[12:13], v[24:25], v[12:13]
	v_add_f64 v[10:11], v[34:35], v[10:11]
	v_fma_f64 v[14:15], v[16:17], s[6:7], v[22:23]
	v_fma_f64 v[22:23], v[16:17], s[4:5], v[22:23]
	v_fma_f64 v[16:17], v[40:41], s[4:5], v[38:39]
	v_fma_f64 v[24:25], v[40:41], s[6:7], v[38:39]
	v_mul_u32_u24_e32 v8, 0x90, v58
	v_lshlrev_b32_e32 v9, 4, v59
	v_add3_u32 v8, 0, v8, v9
	ds_write_b128 v8, v[18:21]
	ds_write_b128 v8, v[4:7] offset:48
	ds_write_b128 v8, v[0:3] offset:96
	v_mul_u32_u24_e32 v0, 0x90, v56
	v_lshlrev_b32_e32 v1, 4, v57
	v_add3_u32 v0, 0, v0, v1
	v_mov_b32_e32 v8, 57
	ds_write_b128 v0, v[10:13]
	ds_write_b128 v0, v[14:17] offset:48
	ds_write_b128 v0, v[22:25] offset:96
	v_mul_lo_u16_sdwa v0, v28, v8 dst_sel:DWORD dst_unused:UNUSED_PAD src0_sel:BYTE_0 src1_sel:DWORD
	v_lshrrev_b16_e32 v110, 9, v0
	v_mul_lo_u16_e32 v0, 9, v110
	v_sub_u16_e32 v111, v28, v0
	v_mov_b32_e32 v9, 9
	v_mul_u32_u24_sdwa v0, v111, v9 dst_sel:DWORD dst_unused:UNUSED_PAD src0_sel:BYTE_0 src1_sel:DWORD
	v_lshlrev_b32_e32 v10, 4, v0
	s_waitcnt lgkmcnt(0)
	s_barrier
	global_load_dwordx4 v[0:3], v10, s[8:9] offset:96
	global_load_dwordx4 v[4:7], v10, s[8:9] offset:112
	;; [unrolled: 1-line block ×8, first 2 shown]
	v_mul_lo_u16_sdwa v8, v104, v8 dst_sel:DWORD dst_unused:UNUSED_PAD src0_sel:BYTE_0 src1_sel:DWORD
	v_lshrrev_b16_e32 v106, 9, v8
	v_mul_lo_u16_e32 v8, 9, v106
	v_sub_u16_e32 v107, v104, v8
	v_mul_u32_u24_sdwa v8, v107, v9 dst_sel:DWORD dst_unused:UNUSED_PAD src0_sel:BYTE_0 src1_sel:DWORD
	v_lshlrev_b32_e32 v94, 4, v8
	global_load_dwordx4 v[40:43], v10, s[8:9] offset:224
	global_load_dwordx4 v[44:47], v94, s[8:9] offset:96
	ds_read_b128 v[8:11], v100 offset:5184
	global_load_dwordx4 v[48:51], v94, s[8:9] offset:112
	global_load_dwordx4 v[56:59], v94, s[8:9] offset:128
	ds_read_b128 v[52:55], v100 offset:6912
	ds_read_b128 v[60:63], v100 offset:10368
	global_load_dwordx4 v[64:67], v94, s[8:9] offset:144
	global_load_dwordx4 v[72:75], v94, s[8:9] offset:160
	ds_read_b128 v[112:115], v100 offset:8640
	ds_read_b128 v[68:71], v100 offset:15552
	v_mul_u32_u24_e32 v110, 0x5a0, v110
	v_lshlrev_b32_sdwa v111, v103, v111 dst_sel:DWORD dst_unused:UNUSED_PAD src0_sel:DWORD src1_sel:BYTE_0
	v_add3_u32 v110, 0, v110, v111
	s_waitcnt vmcnt(13) lgkmcnt(4)
	v_mul_f64 v[76:77], v[10:11], v[2:3]
	v_mul_f64 v[2:3], v[8:9], v[2:3]
	s_waitcnt vmcnt(11) lgkmcnt(0)
	v_mul_f64 v[86:87], v[70:71], v[14:15]
	v_mul_f64 v[80:81], v[62:63], v[6:7]
	;; [unrolled: 1-line block ×4, first 2 shown]
	v_fma_f64 v[88:89], v[8:9], v[0:1], v[76:77]
	v_fma_f64 v[90:91], v[10:11], v[0:1], -v[2:3]
	ds_read_b128 v[0:3], v100 offset:17280
	ds_read_b128 v[76:79], v100 offset:20736
	global_load_dwordx4 v[82:85], v94, s[8:9] offset:176
	global_load_dwordx4 v[116:119], v94, s[8:9] offset:192
	;; [unrolled: 1-line block ×4, first 2 shown]
	v_fma_f64 v[92:93], v[68:69], v[12:13], v[86:87]
	v_mul_u32_u24_sdwa v68, v105, s10 dst_sel:DWORD dst_unused:UNUSED_PAD src0_sel:WORD_0 src1_sel:DWORD
	v_lshrrev_b32_e32 v108, 19, v68
	v_mul_lo_u16_e32 v68, 9, v108
	v_fma_f64 v[10:11], v[60:61], v[4:5], v[80:81]
	s_waitcnt vmcnt(14) lgkmcnt(0)
	v_mul_f64 v[80:81], v[78:79], v[18:19]
	v_mul_f64 v[18:19], v[76:77], v[18:19]
	v_sub_u16_e32 v109, v105, v68
	v_mul_u32_u24_e32 v68, 9, v109
	v_lshlrev_b32_e32 v164, 4, v68
	global_load_dwordx4 v[128:131], v164, s[8:9] offset:96
	global_load_dwordx4 v[132:135], v164, s[8:9] offset:112
	global_load_dwordx4 v[140:143], v164, s[8:9] offset:144
	v_fma_f64 v[96:97], v[76:77], v[16:17], v[80:81]
	v_fma_f64 v[94:95], v[78:79], v[16:17], -v[18:19]
	global_load_dwordx4 v[16:19], v164, s[8:9] offset:128
	v_fma_f64 v[8:9], v[62:63], v[4:5], -v[6:7]
	ds_read_b128 v[4:7], v100 offset:19008
	ds_read_b128 v[60:63], v100 offset:25920
	v_fma_f64 v[98:99], v[70:71], v[12:13], -v[14:15]
	ds_read_b128 v[12:15], v100 offset:27648
	ds_read_b128 v[136:139], v100 offset:29376
	;; [unrolled: 1-line block ×5, first 2 shown]
	global_load_dwordx4 v[148:151], v164, s[8:9] offset:160
	global_load_dwordx4 v[152:155], v164, s[8:9] offset:176
	s_waitcnt vmcnt(19) lgkmcnt(5)
	v_mul_f64 v[86:87], v[62:63], v[22:23]
	global_load_dwordx4 v[160:163], v164, s[8:9] offset:192
	v_mul_f64 v[22:23], v[60:61], v[22:23]
	s_waitcnt vmcnt(19) lgkmcnt(2)
	v_mul_f64 v[80:81], v[70:71], v[26:27]
	v_mul_f64 v[26:27], v[68:69], v[26:27]
	ds_read_b128 v[168:171], v100 offset:13824
	ds_read_b128 v[156:159], v100 offset:39744
	s_mov_b32 s10, s14
	v_fma_f64 v[172:173], v[60:61], v[20:21], v[86:87]
	s_waitcnt vmcnt(18) lgkmcnt(2)
	v_mul_f64 v[60:61], v[146:147], v[34:35]
	v_mul_f64 v[34:35], v[144:145], v[34:35]
	v_fma_f64 v[174:175], v[62:63], v[20:21], -v[22:23]
	s_waitcnt vmcnt(17)
	v_mul_f64 v[62:63], v[78:79], v[38:39]
	v_mul_f64 v[38:39], v[76:77], v[38:39]
	v_fma_f64 v[176:177], v[68:69], v[24:25], v[80:81]
	v_fma_f64 v[178:179], v[70:71], v[24:25], -v[26:27]
	ds_read_b128 v[24:27], v100 offset:46656
	v_fma_f64 v[180:181], v[144:145], v[32:33], v[60:61]
	v_fma_f64 v[182:183], v[146:147], v[32:33], -v[34:35]
	ds_read_b128 v[32:35], v100 offset:48384
	global_load_dwordx4 v[144:147], v164, s[8:9] offset:208
	v_fma_f64 v[184:185], v[76:77], v[36:37], v[62:63]
	global_load_dwordx4 v[164:167], v164, s[8:9] offset:224
	s_waitcnt vmcnt(18) lgkmcnt(1)
	v_mul_f64 v[60:61], v[26:27], v[42:43]
	v_fma_f64 v[186:187], v[78:79], v[36:37], -v[38:39]
	v_mul_f64 v[42:43], v[24:25], v[42:43]
	s_waitcnt vmcnt(17)
	v_mul_f64 v[62:63], v[54:55], v[46:47]
	ds_read_b128 v[36:39], v100 offset:12096
	v_mul_f64 v[46:47], v[52:53], v[46:47]
	ds_read_b128 v[20:23], v100 offset:38016
	v_fma_f64 v[188:189], v[24:25], v[40:41], v[60:61]
	s_waitcnt vmcnt(16) lgkmcnt(1)
	v_mul_f64 v[70:71], v[38:39], v[50:51]
	v_fma_f64 v[190:191], v[26:27], v[40:41], -v[42:43]
	v_fma_f64 v[60:61], v[52:53], v[44:45], v[62:63]
	ds_read_b128 v[24:27], v100 offset:22464
	ds_read_b128 v[40:43], v100 offset:24192
	v_fma_f64 v[68:69], v[54:55], v[44:45], -v[46:47]
	s_waitcnt vmcnt(15)
	v_mul_f64 v[44:45], v[2:3], v[58:59]
	v_mul_f64 v[46:47], v[0:1], v[58:59]
	;; [unrolled: 1-line block ×3, first 2 shown]
	v_fma_f64 v[52:53], v[36:37], v[48:49], v[70:71]
	s_waitcnt vmcnt(14) lgkmcnt(1)
	v_mul_f64 v[36:37], v[26:27], v[66:67]
	s_waitcnt vmcnt(13)
	v_mul_f64 v[70:71], v[14:15], v[74:75]
	v_mul_f64 v[66:67], v[24:25], v[66:67]
	v_fma_f64 v[62:63], v[0:1], v[56:57], v[44:45]
	v_fma_f64 v[76:77], v[2:3], v[56:57], -v[46:47]
	ds_read_b128 v[0:3], v100 offset:32832
	ds_read_b128 v[44:47], v100 offset:34560
	v_fma_f64 v[54:55], v[38:39], v[48:49], -v[50:51]
	v_mul_f64 v[38:39], v[12:13], v[74:75]
	v_fma_f64 v[58:59], v[24:25], v[64:65], v[36:37]
	v_fma_f64 v[70:71], v[12:13], v[72:73], v[70:71]
	s_waitcnt vmcnt(12) lgkmcnt(1)
	v_mul_f64 v[12:13], v[2:3], v[84:85]
	v_mul_f64 v[36:37], v[0:1], v[84:85]
	v_fma_f64 v[56:57], v[26:27], v[64:65], -v[66:67]
	ds_read_b128 v[24:27], v100 offset:43200
	ds_read_b128 v[48:51], v100 offset:44928
	v_fma_f64 v[80:81], v[14:15], v[72:73], -v[38:39]
	s_waitcnt vmcnt(11)
	v_mul_f64 v[14:15], v[22:23], v[118:119]
	v_mul_f64 v[38:39], v[20:21], v[118:119]
	s_waitcnt vmcnt(10) lgkmcnt(1)
	v_mul_f64 v[72:73], v[26:27], v[122:123]
	v_mul_f64 v[86:87], v[24:25], v[122:123]
	v_fma_f64 v[66:67], v[0:1], v[82:83], v[12:13]
	v_fma_f64 v[64:65], v[2:3], v[82:83], -v[36:37]
	s_waitcnt vmcnt(9)
	v_mul_f64 v[0:1], v[34:35], v[126:127]
	v_mul_f64 v[2:3], v[32:33], v[126:127]
	v_fma_f64 v[78:79], v[20:21], v[116:117], v[14:15]
	s_waitcnt vmcnt(8)
	v_mul_f64 v[12:13], v[114:115], v[130:131]
	v_fma_f64 v[74:75], v[24:25], v[120:121], v[72:73]
	v_fma_f64 v[72:73], v[26:27], v[120:121], -v[86:87]
	v_mul_f64 v[14:15], v[112:113], v[130:131]
	s_waitcnt vmcnt(5)
	v_mul_f64 v[20:21], v[6:7], v[18:19]
	v_fma_f64 v[82:83], v[32:33], v[124:125], v[0:1]
	v_fma_f64 v[86:87], v[34:35], v[124:125], -v[2:3]
	v_mul_f64 v[0:1], v[170:171], v[134:135]
	v_mul_f64 v[2:3], v[168:169], v[134:135]
	;; [unrolled: 1-line block ×5, first 2 shown]
	v_fma_f64 v[84:85], v[22:23], v[116:117], -v[38:39]
	v_fma_f64 v[22:23], v[112:113], v[128:129], v[12:13]
	v_fma_f64 v[26:27], v[114:115], v[128:129], -v[14:15]
	v_fma_f64 v[14:15], v[168:169], v[132:133], v[0:1]
	v_fma_f64 v[12:13], v[170:171], v[132:133], -v[2:3]
	s_waitcnt vmcnt(4)
	v_mul_f64 v[0:1], v[138:139], v[150:151]
	v_mul_f64 v[2:3], v[136:137], v[150:151]
	v_fma_f64 v[20:21], v[4:5], v[16:17], v[20:21]
	v_fma_f64 v[32:33], v[6:7], v[16:17], -v[18:19]
	v_fma_f64 v[18:19], v[40:41], v[140:141], v[24:25]
	v_fma_f64 v[16:17], v[42:43], v[140:141], -v[34:35]
	s_waitcnt vmcnt(3)
	v_mul_f64 v[34:35], v[46:47], v[154:155]
	v_mul_f64 v[40:41], v[44:45], v[154:155]
	s_waitcnt vmcnt(2)
	v_mul_f64 v[42:43], v[158:159], v[162:163]
	v_mul_f64 v[112:113], v[156:157], v[162:163]
	v_fma_f64 v[24:25], v[136:137], v[148:149], v[0:1]
	v_fma_f64 v[36:37], v[138:139], v[148:149], -v[2:3]
	ds_read_b128 v[0:3], v100 offset:50112
	ds_read_b128 v[4:7], v100
	v_add_f64 v[114:115], v[90:91], v[98:99]
	v_fma_f64 v[38:39], v[44:45], v[152:153], v[34:35]
	v_fma_f64 v[34:35], v[46:47], v[152:153], -v[40:41]
	v_fma_f64 v[40:41], v[156:157], v[160:161], v[42:43]
	v_fma_f64 v[42:43], v[158:159], v[160:161], -v[112:113]
	s_waitcnt lgkmcnt(0)
	v_add_f64 v[44:45], v[4:5], v[10:11]
	v_add_f64 v[112:113], v[88:89], v[92:93]
	;; [unrolled: 1-line block ×3, first 2 shown]
	s_waitcnt vmcnt(1)
	v_mul_f64 v[116:117], v[50:51], v[146:147]
	s_waitcnt vmcnt(0)
	v_mul_f64 v[120:121], v[2:3], v[166:167]
	v_mul_f64 v[118:119], v[48:49], v[146:147]
	;; [unrolled: 1-line block ×3, first 2 shown]
	v_add_f64 v[114:115], v[114:115], v[174:175]
	v_add_f64 v[124:125], v[44:45], v[96:97]
	;; [unrolled: 1-line block ×4, first 2 shown]
	v_fma_f64 v[46:47], v[48:49], v[144:145], v[116:117]
	v_fma_f64 v[48:49], v[0:1], v[164:165], v[120:121]
	v_fma_f64 v[44:45], v[50:51], v[144:145], -v[118:119]
	v_fma_f64 v[50:51], v[2:3], v[164:165], -v[122:123]
	v_add_f64 v[114:115], v[114:115], v[182:183]
	v_add_f64 v[0:1], v[124:125], v[176:177]
	;; [unrolled: 1-line block ×12, first 2 shown]
	v_fma_f64 v[116:117], v[116:117], -0.5, v[4:5]
	v_fma_f64 v[118:119], v[118:119], -0.5, v[4:5]
	v_add_f64 v[124:125], v[10:11], -v[96:97]
	v_add_f64 v[126:127], v[184:185], -v[176:177]
	v_fma_f64 v[120:121], v[120:121], -0.5, v[6:7]
	v_fma_f64 v[122:123], v[122:123], -0.5, v[6:7]
	v_add_f64 v[4:5], v[0:1], v[112:113]
	v_add_f64 v[0:1], v[0:1], -v[112:113]
	v_add_f64 v[112:113], v[174:175], v[182:183]
	v_add_f64 v[6:7], v[2:3], v[114:115]
	v_add_f64 v[2:3], v[2:3], -v[114:115]
	v_add_f64 v[114:115], v[124:125], v[126:127]
	v_add_f64 v[124:125], v[172:173], v[180:181]
	v_add_f64 v[136:137], v[92:93], -v[188:189]
	v_add_f64 v[134:135], v[98:99], -v[174:175]
	;; [unrolled: 1-line block ×3, first 2 shown]
	v_fma_f64 v[112:113], v[112:113], -0.5, v[90:91]
	v_add_f64 v[140:141], v[190:191], -v[182:183]
	v_add_f64 v[144:145], v[172:173], -v[180:181]
	;; [unrolled: 1-line block ×3, first 2 shown]
	v_fma_f64 v[124:125], v[124:125], -0.5, v[88:89]
	v_add_f64 v[128:129], v[186:187], -v[178:179]
	v_add_f64 v[130:131], v[92:93], -v[172:173]
	;; [unrolled: 1-line block ×3, first 2 shown]
	v_fma_f64 v[142:143], v[136:137], s[10:11], v[112:113]
	v_add_f64 v[148:149], v[174:175], -v[182:183]
	v_add_f64 v[134:135], v[134:135], v[140:141]
	v_add_f64 v[152:153], v[92:93], v[188:189]
	v_fma_f64 v[146:147], v[138:139], s[14:15], v[124:125]
	v_add_f64 v[126:127], v[126:127], v[128:129]
	v_add_f64 v[128:129], v[8:9], -v[186:187]
	v_add_f64 v[130:131], v[130:131], v[132:133]
	v_fma_f64 v[140:141], v[144:145], s[12:13], v[142:143]
	v_add_f64 v[142:143], v[98:99], v[190:191]
	v_add_f64 v[154:155], v[94:95], -v[178:179]
	v_add_f64 v[156:157], v[96:97], -v[176:177]
	v_fma_f64 v[132:133], v[148:149], s[16:17], v[146:147]
	v_add_f64 v[146:147], v[10:11], -v[184:185]
	v_fma_f64 v[150:151], v[128:129], s[14:15], v[116:117]
	;; [unrolled: 2-line block ×3, first 2 shown]
	v_fma_f64 v[142:143], v[142:143], -0.5, v[90:91]
	v_add_f64 v[160:161], v[182:183], -v[190:191]
	v_fma_f64 v[152:153], v[152:153], -0.5, v[88:89]
	v_fma_f64 v[132:133], v[130:131], s[18:19], v[132:133]
	v_fma_f64 v[90:91], v[146:147], s[10:11], v[120:121]
	;; [unrolled: 1-line block ×3, first 2 shown]
	v_add_f64 v[92:93], v[172:173], -v[92:93]
	v_mul_f64 v[158:159], v[140:141], s[16:17]
	v_fma_f64 v[88:89], v[144:145], s[14:15], v[142:143]
	v_mul_f64 v[140:141], v[140:141], s[22:23]
	v_add_f64 v[162:163], v[180:181], -v[188:189]
	v_add_f64 v[98:99], v[98:99], v[160:161]
	v_fma_f64 v[90:91], v[156:157], s[12:13], v[90:91]
	v_fma_f64 v[160:161], v[148:149], s[10:11], v[152:153]
	v_add_f64 v[10:11], v[96:97], -v[10:11]
	v_fma_f64 v[158:159], v[132:133], s[22:23], v[158:159]
	v_fma_f64 v[88:89], v[136:137], s[12:13], v[88:89]
	;; [unrolled: 1-line block ×4, first 2 shown]
	v_add_f64 v[96:97], v[92:93], v[162:163]
	v_fma_f64 v[150:151], v[126:127], s[18:19], v[90:91]
	v_fma_f64 v[90:91], v[138:139], s[16:17], v[160:161]
	v_add_f64 v[160:161], v[176:177], -v[184:185]
	v_add_f64 v[8:9], v[94:95], -v[8:9]
	v_fma_f64 v[92:93], v[98:99], s[18:19], v[88:89]
	v_add_f64 v[94:95], v[178:179], -v[186:187]
	v_fma_f64 v[162:163], v[154:155], s[10:11], v[118:119]
	v_add_f64 v[88:89], v[140:141], v[158:159]
	v_fma_f64 v[112:113], v[136:137], s[14:15], v[112:113]
	v_fma_f64 v[166:167], v[96:97], s[18:19], v[90:91]
	v_add_f64 v[160:161], v[10:11], v[160:161]
	v_add_f64 v[90:91], v[150:151], v[132:133]
	v_mul_f64 v[168:169], v[92:93], s[14:15]
	v_mul_f64 v[92:93], v[92:93], s[18:19]
	v_add_f64 v[170:171], v[8:9], v[94:95]
	v_fma_f64 v[10:11], v[128:129], s[16:17], v[162:163]
	v_add_f64 v[8:9], v[140:141], -v[158:159]
	v_fma_f64 v[124:125], v[138:139], s[10:11], v[124:125]
	v_fma_f64 v[112:113], v[144:145], s[16:17], v[112:113]
	;; [unrolled: 1-line block ×8, first 2 shown]
	v_add_f64 v[10:11], v[150:151], -v[132:133]
	v_fma_f64 v[122:123], v[156:157], s[10:11], v[122:123]
	v_fma_f64 v[116:117], v[128:129], s[10:11], v[116:117]
	;; [unrolled: 1-line block ×14, first 2 shown]
	v_mul_f64 v[130:131], v[112:113], s[16:17]
	v_mul_f64 v[112:113], v[112:113], s[24:25]
	v_fma_f64 v[94:95], v[146:147], s[12:13], v[164:165]
	v_fma_f64 v[118:119], v[160:161], s[18:19], v[118:119]
	;; [unrolled: 1-line block ×4, first 2 shown]
	v_mul_f64 v[128:129], v[98:99], s[14:15]
	v_mul_f64 v[98:99], v[98:99], s[20:21]
	v_fma_f64 v[126:127], v[126:127], s[18:19], v[120:121]
	v_fma_f64 v[130:131], v[124:125], s[24:25], v[130:131]
	;; [unrolled: 1-line block ×5, first 2 shown]
	v_add_f64 v[144:145], v[56:57], -v[64:65]
	v_fma_f64 v[128:129], v[96:97], s[20:21], v[128:129]
	v_fma_f64 v[132:133], v[96:97], s[10:11], v[98:99]
	v_add_f64 v[142:143], v[52:53], -v[74:75]
	v_add_f64 v[120:121], v[134:135], v[130:131]
	v_add_f64 v[124:125], v[134:135], -v[130:131]
	v_add_f64 v[92:93], v[152:153], v[140:141]
	v_add_f64 v[94:95], v[162:163], v[158:159]
	v_add_f64 v[96:97], v[152:153], -v[140:141]
	v_add_f64 v[112:113], v[118:119], v[128:129]
	v_add_f64 v[114:115], v[122:123], v[132:133]
	v_add_f64 v[116:117], v[118:119], -v[128:129]
	v_add_f64 v[118:119], v[122:123], -v[132:133]
	v_add_f64 v[122:123], v[126:127], v[136:137]
	v_add_f64 v[98:99], v[162:163], -v[158:159]
	ds_read_b128 v[128:131], v100 offset:1728
	ds_read_b128 v[132:135], v100 offset:3456
	s_waitcnt lgkmcnt(0)
	s_barrier
	ds_write_b128 v110, v[4:7]
	ds_write_b128 v110, v[88:91] offset:144
	ds_write_b128 v110, v[92:95] offset:288
	;; [unrolled: 1-line block ×3, first 2 shown]
	v_add_f64 v[4:5], v[128:129], v[52:53]
	v_add_f64 v[6:7], v[130:131], v[54:55]
	;; [unrolled: 1-line block ×4, first 2 shown]
	ds_write_b128 v110, v[120:123] offset:576
	ds_write_b128 v110, v[0:3] offset:720
	;; [unrolled: 1-line block ×4, first 2 shown]
	v_add_f64 v[8:9], v[58:59], v[66:67]
	v_add_f64 v[126:127], v[126:127], -v[136:137]
	v_add_f64 v[10:11], v[52:53], v[74:75]
	v_add_f64 v[0:1], v[4:5], v[58:59]
	;; [unrolled: 1-line block ×6, first 2 shown]
	v_fma_f64 v[90:91], v[8:9], -0.5, v[128:129]
	v_add_f64 v[8:9], v[70:71], v[78:79]
	ds_write_b128 v110, v[116:119] offset:1152
	ds_write_b128 v110, v[124:127] offset:1296
	v_add_f64 v[0:1], v[0:1], v[66:67]
	v_add_f64 v[2:3], v[2:3], v[64:65]
	v_add_f64 v[110:111], v[62:63], -v[82:83]
	v_add_f64 v[114:115], v[76:77], -v[86:87]
	v_fma_f64 v[88:89], v[88:89], -0.5, v[68:69]
	v_fma_f64 v[92:93], v[10:11], -0.5, v[128:129]
	;; [unrolled: 1-line block ×3, first 2 shown]
	v_add_f64 v[10:11], v[56:57], v[64:65]
	v_add_f64 v[94:95], v[54:55], v[72:73]
	;; [unrolled: 1-line block ×4, first 2 shown]
	v_add_f64 v[0:1], v[62:63], -v[70:71]
	v_add_f64 v[2:3], v[82:83], -v[78:79]
	;; [unrolled: 1-line block ×4, first 2 shown]
	v_fma_f64 v[118:119], v[110:111], s[10:11], v[88:89]
	v_add_f64 v[120:121], v[70:71], -v[78:79]
	v_fma_f64 v[122:123], v[114:115], s[14:15], v[112:113]
	v_add_f64 v[124:125], v[80:81], -v[84:85]
	v_add_f64 v[126:127], v[52:53], -v[58:59]
	;; [unrolled: 1-line block ×3, first 2 shown]
	v_fma_f64 v[140:141], v[10:11], -0.5, v[130:131]
	v_add_f64 v[116:117], v[8:9], v[116:117]
	v_fma_f64 v[94:95], v[94:95], -0.5, v[130:131]
	v_fma_f64 v[8:9], v[120:121], s[12:13], v[118:119]
	v_add_f64 v[118:119], v[0:1], v[2:3]
	v_fma_f64 v[2:3], v[124:125], s[16:17], v[122:123]
	v_add_f64 v[122:123], v[54:55], -v[72:73]
	v_add_f64 v[130:131], v[76:77], v[86:87]
	v_add_f64 v[126:127], v[126:127], v[128:129]
	;; [unrolled: 1-line block ×4, first 2 shown]
	v_add_f64 v[76:77], v[80:81], -v[76:77]
	v_add_f64 v[4:5], v[4:5], v[78:79]
	v_add_f64 v[148:149], v[58:59], -v[66:67]
	v_fma_f64 v[10:11], v[122:123], s[14:15], v[90:91]
	v_fma_f64 v[68:69], v[130:131], -0.5, v[68:69]
	v_add_f64 v[136:137], v[54:55], -v[56:57]
	v_fma_f64 v[80:81], v[128:129], -0.5, v[60:61]
	v_add_f64 v[60:61], v[84:85], -v[86:87]
	v_add_f64 v[138:139], v[72:73], -v[64:65]
	v_fma_f64 v[8:9], v[116:117], s[18:19], v[8:9]
	v_fma_f64 v[146:147], v[142:143], s[10:11], v[140:141]
	;; [unrolled: 1-line block ×4, first 2 shown]
	v_add_f64 v[52:53], v[58:59], -v[52:53]
	v_add_f64 v[58:59], v[66:67], -v[74:75]
	v_add_f64 v[76:77], v[76:77], v[60:61]
	v_add_f64 v[54:55], v[56:57], -v[54:55]
	v_add_f64 v[56:57], v[64:65], -v[72:73]
	v_fma_f64 v[66:67], v[120:121], s[10:11], v[68:69]
	v_fma_f64 v[128:129], v[126:127], s[18:19], v[10:11]
	v_add_f64 v[10:11], v[70:71], -v[62:63]
	v_add_f64 v[62:63], v[78:79], -v[82:83]
	v_fma_f64 v[70:71], v[124:125], s[10:11], v[80:81]
	v_fma_f64 v[60:61], v[110:111], s[12:13], v[84:85]
	;; [unrolled: 1-line block ×5, first 2 shown]
	v_mul_f64 v[150:151], v[8:9], s[16:17]
	v_add_f64 v[136:137], v[136:137], v[138:139]
	v_add_f64 v[78:79], v[10:11], v[62:63]
	v_fma_f64 v[62:63], v[114:115], s[16:17], v[70:71]
	v_fma_f64 v[70:71], v[76:77], s[18:19], v[60:61]
	v_mul_f64 v[8:9], v[8:9], s[22:23]
	v_fma_f64 v[130:131], v[148:149], s[12:13], v[146:147]
	v_add_f64 v[56:57], v[54:55], v[56:57]
	v_fma_f64 v[54:55], v[110:111], s[16:17], v[66:67]
	v_add_f64 v[58:59], v[52:53], v[58:59]
	v_add_f64 v[6:7], v[6:7], v[86:87]
	v_fma_f64 v[64:65], v[78:79], s[18:19], v[62:63]
	v_mul_f64 v[68:69], v[70:71], s[14:15]
	v_mul_f64 v[52:53], v[70:71], s[18:19]
	v_fma_f64 v[70:71], v[124:125], s[14:15], v[80:81]
	v_fma_f64 v[86:87], v[2:3], s[12:13], v[8:9]
	;; [unrolled: 1-line block ×13, first 2 shown]
	v_add_f64 v[10:11], v[130:131], v[86:87]
	v_add_f64 v[62:63], v[130:131], -v[86:87]
	v_fma_f64 v[84:85], v[122:123], s[10:11], v[90:91]
	v_fma_f64 v[86:87], v[124:125], s[12:13], v[54:55]
	;; [unrolled: 1-line block ×4, first 2 shown]
	v_add_f64 v[4:5], v[4:5], v[82:83]
	v_fma_f64 v[82:83], v[122:123], s[12:13], v[52:53]
	v_fma_f64 v[80:81], v[142:143], s[16:17], v[80:81]
	;; [unrolled: 1-line block ×3, first 2 shown]
	v_mul_f64 v[78:79], v[76:77], s[14:15]
	v_mul_f64 v[76:77], v[76:77], s[20:21]
	v_fma_f64 v[74:75], v[116:117], s[18:19], v[74:75]
	v_fma_f64 v[84:85], v[144:145], s[12:13], v[84:85]
	;; [unrolled: 1-line block ×8, first 2 shown]
	v_mul_f64 v[90:91], v[74:75], s[16:17]
	v_mul_f64 v[74:75], v[74:75], s[24:25]
	v_fma_f64 v[80:81], v[56:57], s[18:19], v[80:81]
	v_fma_f64 v[78:79], v[70:71], s[20:21], v[78:79]
	;; [unrolled: 1-line block ×5, first 2 shown]
	v_add_f64 v[0:1], v[96:97], v[4:5]
	v_fma_f64 v[88:89], v[86:87], s[24:25], v[90:91]
	v_fma_f64 v[86:87], v[86:87], s[12:13], v[74:75]
	v_add_f64 v[2:3], v[98:99], v[6:7]
	v_add_f64 v[8:9], v[128:129], v[138:139]
	;; [unrolled: 1-line block ×4, first 2 shown]
	v_add_f64 v[56:57], v[68:69], -v[66:67]
	v_add_f64 v[58:59], v[72:73], -v[64:65]
	v_add_f64 v[64:65], v[82:83], v[78:79]
	v_add_f64 v[66:67], v[80:81], v[70:71]
	v_add_f64 v[72:73], v[76:77], v[88:89]
	v_add_f64 v[74:75], v[84:85], v[86:87]
	v_add_f64 v[4:5], v[96:97], -v[4:5]
	v_add_f64 v[6:7], v[98:99], -v[6:7]
	;; [unrolled: 1-line block ×4, first 2 shown]
	v_mul_u32_u24_e32 v80, 0x5a0, v106
	v_lshlrev_b32_sdwa v81, v103, v107 dst_sel:DWORD dst_unused:UNUSED_PAD src0_sel:DWORD src1_sel:BYTE_0
	v_add3_u32 v80, 0, v80, v81
	v_add_f64 v[68:69], v[82:83], -v[78:79]
	ds_write_b128 v80, v[0:3]
	ds_write_b128 v80, v[8:11] offset:144
	ds_write_b128 v80, v[52:55] offset:288
	;; [unrolled: 1-line block ×8, first 2 shown]
	v_add_f64 v[0:1], v[18:19], v[38:39]
	v_add_f64 v[2:3], v[132:133], v[14:15]
	;; [unrolled: 1-line block ×7, first 2 shown]
	v_add_f64 v[76:77], v[76:77], -v[88:89]
	v_fma_f64 v[54:55], v[0:1], -0.5, v[132:133]
	v_add_f64 v[0:1], v[2:3], v[18:19]
	v_fma_f64 v[56:57], v[4:5], -0.5, v[132:133]
	v_add_f64 v[2:3], v[36:37], v[42:43]
	v_fma_f64 v[58:59], v[6:7], -0.5, v[134:135]
	v_add_f64 v[4:5], v[8:9], v[16:17]
	v_add_f64 v[6:7], v[10:11], v[24:25]
	v_add_f64 v[78:79], v[84:85], -v[86:87]
	v_add_f64 v[8:9], v[52:53], v[36:37]
	v_add_f64 v[0:1], v[0:1], v[38:39]
	;; [unrolled: 1-line block ×3, first 2 shown]
	v_fma_f64 v[60:61], v[2:3], -0.5, v[26:27]
	v_add_f64 v[62:63], v[20:21], -v[48:49]
	v_add_f64 v[2:3], v[4:5], v[34:35]
	v_add_f64 v[4:5], v[6:7], v[40:41]
	ds_write_b128 v80, v[76:79] offset:1296
	v_add_f64 v[6:7], v[8:9], v[42:43]
	v_add_f64 v[8:9], v[32:33], -v[36:37]
	v_add_f64 v[64:65], v[50:51], -v[42:43]
	v_fma_f64 v[52:53], v[52:53], -0.5, v[22:23]
	v_add_f64 v[66:67], v[32:33], -v[50:51]
	v_fma_f64 v[68:69], v[62:63], s[10:11], v[60:61]
	v_add_f64 v[70:71], v[24:25], -v[40:41]
	v_add_f64 v[72:73], v[0:1], v[46:47]
	v_add_f64 v[4:5], v[4:5], v[48:49]
	v_add_f64 v[74:75], v[20:21], -v[24:25]
	v_add_f64 v[76:77], v[48:49], -v[40:41]
	v_add_f64 v[64:65], v[8:9], v[64:65]
	v_fma_f64 v[8:9], v[66:67], s[14:15], v[52:53]
	v_add_f64 v[78:79], v[36:37], -v[42:43]
	v_fma_f64 v[68:69], v[70:71], s[12:13], v[68:69]
	v_add_f64 v[82:83], v[14:15], -v[18:19]
	v_add_f64 v[0:1], v[72:73], v[4:5]
	v_add_f64 v[84:85], v[12:13], -v[16:17]
	v_add_f64 v[74:75], v[74:75], v[76:77]
	v_add_f64 v[76:77], v[46:47], -v[38:39]
	v_add_f64 v[86:87], v[44:45], -v[34:35]
	;; [unrolled: 1-line block ×3, first 2 shown]
	v_add_f64 v[72:73], v[32:33], v[50:51]
	v_fma_f64 v[8:9], v[78:79], s[16:17], v[8:9]
	v_fma_f64 v[68:69], v[64:65], s[18:19], v[68:69]
	v_add_f64 v[90:91], v[12:13], -v[44:45]
	v_add_f64 v[32:33], v[36:37], -v[32:33]
	v_add_f64 v[76:77], v[82:83], v[76:77]
	v_add_f64 v[82:83], v[84:85], v[86:87]
	;; [unrolled: 1-line block ×3, first 2 shown]
	v_fma_f64 v[26:27], v[72:73], -0.5, v[26:27]
	v_fma_f64 v[8:9], v[74:75], s[18:19], v[8:9]
	v_mul_f64 v[88:89], v[68:69], s[16:17]
	v_mul_f64 v[68:69], v[68:69], s[22:23]
	v_add_f64 v[72:73], v[14:15], -v[46:47]
	v_add_f64 v[36:37], v[42:43], -v[50:51]
	v_add_f64 v[10:11], v[12:13], v[44:45]
	v_fma_f64 v[22:23], v[84:85], -0.5, v[22:23]
	v_fma_f64 v[42:43], v[70:71], s[14:15], v[26:27]
	v_add_f64 v[6:7], v[6:7], v[50:51]
	v_fma_f64 v[86:87], v[8:9], s[22:23], v[88:89]
	v_fma_f64 v[88:89], v[90:91], s[14:15], v[54:55]
	v_add_f64 v[92:93], v[16:17], -v[34:35]
	v_fma_f64 v[50:51], v[72:73], s[10:11], v[58:59]
	v_add_f64 v[84:85], v[18:19], -v[38:39]
	;; [unrolled: 2-line block ×3, first 2 shown]
	v_add_f64 v[20:21], v[40:41], -v[48:49]
	v_add_f64 v[24:25], v[32:33], v[36:37]
	v_fma_f64 v[32:33], v[78:79], s[10:11], v[22:23]
	v_fma_f64 v[36:37], v[62:63], s[12:13], v[42:43]
	v_fma_f64 v[80:81], v[10:11], -0.5, v[134:135]
	v_fma_f64 v[40:41], v[92:93], s[16:17], v[88:89]
	v_fma_f64 v[42:43], v[84:85], s[12:13], v[50:51]
	v_add_f64 v[14:15], v[18:19], -v[14:15]
	v_add_f64 v[18:19], v[38:39], -v[46:47]
	;; [unrolled: 1-line block ×3, first 2 shown]
	v_add_f64 v[20:21], v[8:9], v[20:21]
	v_fma_f64 v[8:9], v[66:67], s[16:17], v[32:33]
	v_fma_f64 v[16:17], v[24:25], s[18:19], v[36:37]
	v_add_f64 v[32:33], v[34:35], -v[44:45]
	v_fma_f64 v[34:35], v[76:77], s[18:19], v[40:41]
	v_fma_f64 v[36:37], v[92:93], s[10:11], v[56:57]
	;; [unrolled: 1-line block ×4, first 2 shown]
	v_add_f64 v[42:43], v[14:15], v[18:19]
	v_fma_f64 v[14:15], v[20:21], s[18:19], v[8:9]
	v_mul_f64 v[18:19], v[16:17], s[14:15]
	v_add_f64 v[32:33], v[12:13], v[32:33]
	v_mul_f64 v[12:13], v[16:17], s[18:19]
	v_add_f64 v[10:11], v[2:3], v[44:45]
	v_fma_f64 v[16:17], v[90:91], s[16:17], v[36:37]
	v_fma_f64 v[36:37], v[72:73], s[12:13], v[38:39]
	v_add_f64 v[8:9], v[34:35], v[86:87]
	v_fma_f64 v[22:23], v[78:79], s[14:15], v[22:23]
	v_fma_f64 v[38:39], v[14:15], s[18:19], v[18:19]
	;; [unrolled: 1-line block ×4, first 2 shown]
	v_add_f64 v[12:13], v[34:35], -v[86:87]
	v_fma_f64 v[34:35], v[62:63], s[14:15], v[60:61]
	v_add_f64 v[2:3], v[10:11], v[6:7]
	v_add_f64 v[6:7], v[10:11], -v[6:7]
	v_add_f64 v[10:11], v[40:41], v[68:69]
	v_add_f64 v[14:15], v[40:41], -v[68:69]
	v_fma_f64 v[40:41], v[62:63], s[16:17], v[18:19]
	v_fma_f64 v[46:47], v[92:93], s[14:15], v[56:57]
	v_fma_f64 v[48:49], v[66:67], s[10:11], v[52:53]
	v_fma_f64 v[34:35], v[70:71], s[16:17], v[34:35]
	v_fma_f64 v[50:51], v[84:85], s[10:11], v[80:81]
	v_fma_f64 v[22:23], v[66:67], s[12:13], v[22:23]
	v_fma_f64 v[52:53], v[72:73], s[14:15], v[58:59]
	v_fma_f64 v[44:45], v[42:43], s[18:19], v[16:17]
	v_fma_f64 v[24:25], v[24:25], s[18:19], v[40:41]
	v_fma_f64 v[40:41], v[90:91], s[12:13], v[46:47]
	v_fma_f64 v[46:47], v[90:91], s[10:11], v[54:55]
	v_fma_f64 v[48:49], v[78:79], s[12:13], v[48:49]
	v_fma_f64 v[34:35], v[64:65], s[18:19], v[34:35]
	v_fma_f64 v[50:51], v[72:73], s[16:17], v[50:51]
	v_fma_f64 v[20:21], v[20:21], s[18:19], v[22:23]
	v_fma_f64 v[52:53], v[84:85], s[16:17], v[52:53]
	v_mul_f64 v[22:23], v[24:25], s[14:15]
	v_mul_f64 v[24:25], v[24:25], s[20:21]
	v_fma_f64 v[46:47], v[92:93], s[12:13], v[46:47]
	v_fma_f64 v[48:49], v[74:75], s[18:19], v[48:49]
	v_mul_f64 v[54:55], v[34:35], s[16:17]
	v_mul_f64 v[34:35], v[34:35], s[24:25]
	v_fma_f64 v[36:37], v[32:33], s[18:19], v[36:37]
	v_fma_f64 v[40:41], v[42:43], s[18:19], v[40:41]
	;; [unrolled: 1-line block ×9, first 2 shown]
	v_add_f64 v[16:17], v[44:45], v[38:39]
	v_add_f64 v[18:19], v[36:37], v[26:27]
	v_add_f64 v[22:23], v[36:37], -v[26:27]
	v_add_f64 v[24:25], v[40:41], v[32:33]
	v_add_f64 v[26:27], v[42:43], v[50:51]
	v_add_f64 v[20:21], v[44:45], -v[38:39]
	v_add_f64 v[36:37], v[46:47], v[54:55]
	v_add_f64 v[38:39], v[52:53], v[48:49]
	v_mul_u32_u24_e32 v44, 0x5a0, v108
	v_lshlrev_b32_e32 v45, 4, v109
	v_add3_u32 v44, 0, v44, v45
	s_movk_i32 s10, 0x5a
	v_add_f64 v[32:33], v[40:41], -v[32:33]
	v_add_f64 v[34:35], v[42:43], -v[50:51]
	;; [unrolled: 1-line block ×4, first 2 shown]
	ds_write_b128 v44, v[0:3]
	ds_write_b128 v44, v[8:11] offset:144
	ds_write_b128 v44, v[16:19] offset:288
	ds_write_b128 v44, v[24:27] offset:432
	ds_write_b128 v44, v[36:39] offset:576
	ds_write_b128 v44, v[4:7] offset:720
	ds_write_b128 v44, v[12:15] offset:864
	ds_write_b128 v44, v[20:23] offset:1008
	ds_write_b128 v44, v[32:35] offset:1152
	ds_write_b128 v44, v[40:43] offset:1296
	v_add_u32_e32 v0, 0xffffffa6, v28
	v_cmp_gt_u32_e32 vcc, s10, v28
	v_cndmask_b32_e32 v91, v0, v28, vcc
	v_mul_i32_i24_e32 v32, 5, v91
	v_mov_b32_e32 v33, 0
	v_lshlrev_b64 v[0:1], 4, v[32:33]
	v_mov_b32_e32 v32, s9
	v_add_co_u32_e32 v20, vcc, s8, v0
	v_addc_co_u32_e32 v21, vcc, v32, v1, vcc
	s_waitcnt lgkmcnt(0)
	s_barrier
	global_load_dwordx4 v[4:7], v[20:21], off offset:1392
	global_load_dwordx4 v[8:11], v[20:21], off offset:1408
	;; [unrolled: 1-line block ×5, first 2 shown]
	s_movk_i32 s10, 0xb7
	v_mul_lo_u16_sdwa v20, v104, s10 dst_sel:DWORD dst_unused:UNUSED_PAD src0_sel:BYTE_0 src1_sel:DWORD
	v_lshrrev_b16_e32 v88, 14, v20
	v_mul_lo_u16_e32 v20, 0x5a, v88
	v_sub_u16_e32 v89, v104, v20
	v_mul_u32_u24_sdwa v20, v89, v29 dst_sel:DWORD dst_unused:UNUSED_PAD src0_sel:BYTE_0 src1_sel:DWORD
	v_lshlrev_b32_e32 v29, 4, v20
	global_load_dwordx4 v[20:23], v29, s[8:9] offset:1392
	global_load_dwordx4 v[24:27], v29, s[8:9] offset:1408
	;; [unrolled: 1-line block ×5, first 2 shown]
	s_movk_i32 s10, 0x2d83
	v_mul_u32_u24_sdwa v29, v105, s10 dst_sel:DWORD dst_unused:UNUSED_PAD src0_sel:WORD_0 src1_sel:DWORD
	ds_read_b128 v[46:49], v100 offset:8640
	v_lshrrev_b32_e32 v29, 20, v29
	v_mul_lo_u16_e32 v50, 0x5a, v29
	v_sub_u16_e32 v90, v105, v50
	v_mul_u32_u24_e32 v50, 5, v90
	v_lshlrev_b32_e32 v68, 4, v50
	ds_read_b128 v[50:53], v100 offset:10368
	ds_read_b128 v[64:67], v100 offset:17280
	global_load_dwordx4 v[56:59], v68, s[8:9] offset:1392
	global_load_dwordx4 v[60:63], v68, s[8:9] offset:1408
	;; [unrolled: 1-line block ×4, first 2 shown]
	v_mul_u32_u24_sdwa v69, v101, s10 dst_sel:DWORD dst_unused:UNUSED_PAD src0_sel:WORD_0 src1_sel:DWORD
	v_lshrrev_b32_e32 v94, 20, v69
	v_mul_lo_u16_e32 v69, 0x5a, v94
	v_sub_u16_e32 v95, v101, v69
	v_mul_u32_u24_e32 v69, 5, v95
	v_lshlrev_b32_e32 v74, 4, v69
	v_mul_u32_u24_e32 v29, 0x21c0, v29
	s_waitcnt vmcnt(13) lgkmcnt(2)
	v_mul_f64 v[54:55], v[48:49], v[6:7]
	v_mul_f64 v[6:7], v[46:47], v[6:7]
	v_fma_f64 v[86:87], v[46:47], v[4:5], v[54:55]
	s_waitcnt vmcnt(12) lgkmcnt(0)
	v_mul_f64 v[54:55], v[66:67], v[10:11]
	v_mul_f64 v[10:11], v[64:65], v[10:11]
	v_fma_f64 v[156:157], v[48:49], v[4:5], -v[6:7]
	ds_read_b128 v[4:7], v100 offset:15552
	ds_read_b128 v[46:49], v100 offset:25920
	global_load_dwordx4 v[108:111], v68, s[8:9] offset:1456
	global_load_dwordx4 v[112:115], v74, s[8:9] offset:1392
	;; [unrolled: 1-line block ×3, first 2 shown]
	ds_read_b128 v[68:71], v100 offset:34560
	ds_read_b128 v[82:85], v100 offset:27648
	v_fma_f64 v[158:159], v[64:65], v[8:9], v[54:55]
	s_waitcnt vmcnt(14) lgkmcnt(2)
	v_mul_f64 v[54:55], v[48:49], v[2:3]
	v_fma_f64 v[160:161], v[66:67], v[8:9], -v[10:11]
	global_load_dwordx4 v[8:11], v74, s[8:9] offset:1408
	ds_read_b128 v[120:123], v100 offset:32832
	ds_read_b128 v[64:67], v100 offset:43200
	;; [unrolled: 1-line block ×3, first 2 shown]
	global_load_dwordx4 v[128:131], v74, s[8:9] offset:1440
	global_load_dwordx4 v[132:135], v74, s[8:9] offset:1456
	v_mul_f64 v[2:3], v[46:47], v[2:3]
	s_waitcnt vmcnt(16) lgkmcnt(4)
	v_mul_f64 v[72:73], v[70:71], v[14:15]
	v_fma_f64 v[162:163], v[46:47], v[0:1], v[54:55]
	v_mul_u32_u24_sdwa v54, v102, s10 dst_sel:DWORD dst_unused:UNUSED_PAD src0_sel:WORD_0 src1_sel:DWORD
	v_lshrrev_b32_e32 v92, 20, v54
	v_mul_lo_u16_e32 v54, 0x5a, v92
	v_sub_u16_e32 v93, v102, v54
	v_mul_u32_u24_e32 v54, 5, v93
	v_lshlrev_b32_e32 v74, 4, v54
	global_load_dwordx4 v[136:139], v74, s[8:9] offset:1392
	global_load_dwordx4 v[140:143], v74, s[8:9] offset:1408
	;; [unrolled: 1-line block ×5, first 2 shown]
	v_mul_f64 v[14:15], v[68:69], v[14:15]
	s_waitcnt vmcnt(20) lgkmcnt(1)
	v_mul_f64 v[46:47], v[66:67], v[18:19]
	v_mul_f64 v[18:19], v[64:65], v[18:19]
	v_fma_f64 v[101:102], v[48:49], v[0:1], -v[2:3]
	ds_read_b128 v[0:3], v100 offset:19008
	v_fma_f64 v[164:165], v[68:69], v[12:13], v[72:73]
	s_waitcnt vmcnt(19)
	v_mul_f64 v[48:49], v[52:53], v[22:23]
	v_mul_f64 v[22:23], v[50:51], v[22:23]
	v_fma_f64 v[166:167], v[70:71], v[12:13], -v[14:15]
	ds_read_b128 v[12:15], v100 offset:20736
	v_fma_f64 v[168:169], v[64:65], v[16:17], v[46:47]
	s_waitcnt vmcnt(18) lgkmcnt(1)
	v_mul_f64 v[46:47], v[2:3], v[26:27]
	s_waitcnt vmcnt(17)
	v_mul_f64 v[54:55], v[84:85], v[36:37]
	v_mul_f64 v[36:37], v[82:83], v[36:37]
	v_fma_f64 v[170:171], v[66:67], v[16:17], -v[18:19]
	v_mul_f64 v[26:27], v[0:1], v[26:27]
	ds_read_b128 v[16:19], v100 offset:36288
	v_fma_f64 v[78:79], v[50:51], v[20:21], v[48:49]
	v_fma_f64 v[74:75], v[52:53], v[20:21], -v[22:23]
	ds_read_b128 v[20:23], v100 offset:38016
	v_fma_f64 v[66:67], v[0:1], v[24:25], v[46:47]
	s_waitcnt vmcnt(16) lgkmcnt(1)
	v_mul_f64 v[46:47], v[18:19], v[40:41]
	v_mul_f64 v[40:41], v[16:17], v[40:41]
	v_fma_f64 v[82:83], v[82:83], v[34:35], v[54:55]
	v_fma_f64 v[80:81], v[84:85], v[34:35], -v[36:37]
	s_waitcnt vmcnt(15)
	v_mul_f64 v[34:35], v[126:127], v[44:45]
	v_mul_f64 v[36:37], v[124:125], v[44:45]
	v_fma_f64 v[68:69], v[2:3], v[24:25], -v[26:27]
	ds_read_b128 v[0:3], v100 offset:12096
	ds_read_b128 v[24:27], v100 offset:29376
	v_fma_f64 v[70:71], v[16:17], v[38:39], v[46:47]
	v_fma_f64 v[72:73], v[18:19], v[38:39], -v[40:41]
	ds_read_b128 v[38:41], v100 offset:31104
	ds_read_b128 v[16:19], v100 offset:13824
	s_waitcnt vmcnt(14) lgkmcnt(3)
	v_mul_f64 v[44:45], v[2:3], v[58:59]
	v_mul_f64 v[46:47], v[0:1], v[58:59]
	v_fma_f64 v[84:85], v[124:125], v[42:43], v[34:35]
	s_waitcnt vmcnt(13)
	v_mul_f64 v[34:35], v[14:15], v[62:63]
	v_mul_f64 v[48:49], v[12:13], v[62:63]
	s_waitcnt vmcnt(12) lgkmcnt(2)
	v_mul_f64 v[50:51], v[26:27], v[98:99]
	v_fma_f64 v[76:77], v[126:127], v[42:43], -v[36:37]
	s_waitcnt vmcnt(11)
	v_mul_f64 v[42:43], v[22:23], v[106:107]
	v_mul_f64 v[36:37], v[24:25], v[98:99]
	v_fma_f64 v[54:55], v[0:1], v[56:57], v[44:45]
	v_fma_f64 v[58:59], v[2:3], v[56:57], -v[46:47]
	v_fma_f64 v[46:47], v[12:13], v[60:61], v[34:35]
	v_fma_f64 v[48:49], v[14:15], v[60:61], -v[48:49]
	v_fma_f64 v[60:61], v[24:25], v[96:97], v[50:51]
	ds_read_b128 v[0:3], v100 offset:46656
	v_fma_f64 v[50:51], v[20:21], v[104:105], v[42:43]
	ds_read_b128 v[42:45], v100 offset:22464
	ds_read_b128 v[124:127], v100 offset:24192
	v_mul_f64 v[12:13], v[20:21], v[106:107]
	v_fma_f64 v[56:57], v[26:27], v[96:97], -v[36:37]
	ds_read_b128 v[96:99], v100 offset:48384
	s_waitcnt vmcnt(10) lgkmcnt(3)
	v_mul_f64 v[14:15], v[2:3], v[110:111]
	v_mul_f64 v[20:21], v[0:1], v[110:111]
	s_waitcnt vmcnt(9)
	v_mul_f64 v[24:25], v[18:19], v[114:115]
	v_mul_f64 v[34:35], v[16:17], v[114:115]
	v_add_f64 v[114:115], v[158:159], v[164:165]
	v_fma_f64 v[52:53], v[22:23], v[104:105], -v[12:13]
	s_waitcnt vmcnt(8)
	v_mul_f64 v[12:13], v[40:41], v[118:119]
	s_waitcnt vmcnt(7) lgkmcnt(2)
	v_mul_f64 v[106:107], v[44:45], v[10:11]
	v_mul_f64 v[10:11], v[42:43], v[10:11]
	v_fma_f64 v[64:65], v[0:1], v[108:109], v[14:15]
	v_fma_f64 v[62:63], v[2:3], v[108:109], -v[20:21]
	v_fma_f64 v[26:27], v[16:17], v[112:113], v[24:25]
	ds_read_b128 v[0:3], v100 offset:39744
	s_waitcnt vmcnt(5) lgkmcnt(1)
	v_mul_f64 v[22:23], v[98:99], v[134:135]
	v_mul_f64 v[24:25], v[96:97], v[134:135]
	v_fma_f64 v[14:15], v[42:43], v[8:9], v[106:107]
	v_fma_f64 v[16:17], v[44:45], v[8:9], -v[10:11]
	v_mul_f64 v[8:9], v[38:39], v[118:119]
	v_fma_f64 v[36:37], v[18:19], v[112:113], -v[34:35]
	v_fma_f64 v[42:43], v[38:39], v[116:117], v[12:13]
	ds_read_b128 v[10:13], v100 offset:41472
	s_waitcnt lgkmcnt(1)
	v_mul_f64 v[20:21], v[0:1], v[130:131]
	s_waitcnt vmcnt(4)
	v_mul_f64 v[34:35], v[6:7], v[138:139]
	v_mul_f64 v[104:105], v[4:5], v[138:139]
	v_fma_f64 v[44:45], v[96:97], v[132:133], v[22:23]
	v_fma_f64 v[38:39], v[40:41], v[116:117], -v[8:9]
	v_fma_f64 v[40:41], v[98:99], v[132:133], -v[24:25]
	ds_read_b128 v[96:99], v100 offset:50112
	v_mul_f64 v[18:19], v[2:3], v[130:131]
	s_waitcnt vmcnt(3)
	v_mul_f64 v[8:9], v[126:127], v[142:143]
	v_fma_f64 v[20:21], v[2:3], v[128:129], -v[20:21]
	v_fma_f64 v[2:3], v[4:5], v[136:137], v[34:35]
	v_fma_f64 v[6:7], v[6:7], v[136:137], -v[104:105]
	ds_read_b128 v[104:107], v100
	s_waitcnt vmcnt(1) lgkmcnt(2)
	v_mul_f64 v[24:25], v[12:13], v[150:151]
	v_mul_f64 v[34:35], v[10:11], v[150:151]
	s_waitcnt vmcnt(0) lgkmcnt(1)
	v_mul_f64 v[108:109], v[98:99], v[154:155]
	v_mul_f64 v[110:111], v[96:97], v[154:155]
	v_add_f64 v[112:113], v[101:102], v[170:171]
	v_fma_f64 v[18:19], v[0:1], v[128:129], v[18:19]
	v_fma_f64 v[0:1], v[124:125], v[140:141], v[8:9]
	v_mul_f64 v[8:9], v[122:123], v[146:147]
	v_mul_f64 v[22:23], v[120:121], v[146:147]
	v_fma_f64 v[10:11], v[10:11], v[148:149], v[24:25]
	v_fma_f64 v[12:13], v[12:13], v[148:149], -v[34:35]
	v_fma_f64 v[34:35], v[96:97], v[152:153], v[108:109]
	v_fma_f64 v[24:25], v[98:99], v[152:153], -v[110:111]
	s_waitcnt lgkmcnt(0)
	v_add_f64 v[96:97], v[104:105], v[158:159]
	v_add_f64 v[98:99], v[86:87], v[162:163]
	v_fma_f64 v[108:109], v[112:113], -0.5, v[156:157]
	v_add_f64 v[110:111], v[162:163], v[168:169]
	v_add_f64 v[112:113], v[162:163], -v[168:169]
	v_mul_f64 v[4:5], v[124:125], v[142:143]
	v_fma_f64 v[8:9], v[120:121], v[144:145], v[8:9]
	v_fma_f64 v[22:23], v[122:123], v[144:145], -v[22:23]
	v_add_f64 v[116:117], v[160:161], v[166:167]
	v_add_f64 v[118:119], v[106:107], v[160:161]
	v_add_f64 v[120:121], v[96:97], v[164:165]
	v_add_f64 v[96:97], v[156:157], v[101:102]
	v_add_f64 v[122:123], v[98:99], v[168:169]
	v_fma_f64 v[86:87], v[110:111], -0.5, v[86:87]
	v_fma_f64 v[98:99], v[112:113], s[4:5], v[108:109]
	v_add_f64 v[101:102], v[101:102], -v[170:171]
	v_fma_f64 v[108:109], v[112:113], s[6:7], v[108:109]
	v_fma_f64 v[4:5], v[126:127], v[140:141], -v[4:5]
	v_fma_f64 v[104:105], v[114:115], -0.5, v[104:105]
	v_fma_f64 v[106:107], v[116:117], -0.5, v[106:107]
	v_add_f64 v[110:111], v[118:119], v[166:167]
	v_add_f64 v[124:125], v[160:161], -v[166:167]
	v_mul_f64 v[112:113], v[98:99], s[6:7]
	v_fma_f64 v[116:117], v[101:102], s[6:7], v[86:87]
	v_mul_f64 v[118:119], v[98:99], 0.5
	v_add_f64 v[126:127], v[158:159], -v[164:165]
	v_fma_f64 v[86:87], v[101:102], s[4:5], v[86:87]
	v_mul_f64 v[101:102], v[108:109], s[6:7]
	v_mul_f64 v[108:109], v[108:109], -0.5
	v_add_f64 v[114:115], v[96:97], v[170:171]
	s_movk_i32 s9, 0x59
	v_fma_f64 v[112:113], v[116:117], 0.5, v[112:113]
	v_fma_f64 v[116:117], v[116:117], s[4:5], v[118:119]
	v_fma_f64 v[118:119], v[124:125], s[6:7], v[104:105]
	;; [unrolled: 1-line block ×4, first 2 shown]
	v_fma_f64 v[101:102], v[86:87], -0.5, v[101:102]
	v_fma_f64 v[86:87], v[86:87], s[4:5], v[108:109]
	v_fma_f64 v[124:125], v[124:125], s[4:5], v[104:105]
	v_add_f64 v[96:97], v[120:121], v[122:123]
	v_add_f64 v[104:105], v[120:121], -v[122:123]
	v_add_f64 v[108:109], v[118:119], v[112:113]
	v_add_f64 v[112:113], v[118:119], -v[112:113]
	v_cmp_lt_u32_e32 vcc, s9, v28
	v_add_f64 v[98:99], v[110:111], v[114:115]
	v_add_f64 v[118:119], v[126:127], v[86:87]
	v_add_f64 v[122:123], v[126:127], -v[86:87]
	v_mov_b32_e32 v86, 0x21c0
	v_cndmask_b32_e32 v86, 0, v86, vcc
	v_lshlrev_b32_e32 v87, 4, v91
	v_add3_u32 v91, 0, v86, v87
	v_add_f64 v[86:87], v[80:81], v[76:77]
	v_add_f64 v[106:107], v[110:111], -v[114:115]
	v_add_f64 v[110:111], v[128:129], v[116:117]
	v_add_f64 v[114:115], v[128:129], -v[116:117]
	;; [unrolled: 2-line block ×3, first 2 shown]
	ds_read_b128 v[124:127], v100 offset:1728
	ds_read_b128 v[128:131], v100 offset:3456
	;; [unrolled: 1-line block ×4, first 2 shown]
	s_waitcnt lgkmcnt(0)
	s_barrier
	ds_write_b128 v91, v[96:99]
	ds_write_b128 v91, v[108:111] offset:1440
	ds_write_b128 v91, v[116:119] offset:2880
	v_add_f64 v[96:97], v[82:83], v[84:85]
	v_add_f64 v[98:99], v[82:83], -v[84:85]
	v_fma_f64 v[86:87], v[86:87], -0.5, v[74:75]
	ds_write_b128 v91, v[104:107] offset:4320
	v_add_f64 v[101:102], v[66:67], v[70:71]
	v_add_f64 v[82:83], v[78:79], v[82:83]
	v_add_f64 v[106:107], v[80:81], -v[76:77]
	v_add_f64 v[104:105], v[68:69], v[72:73]
	v_fma_f64 v[78:79], v[96:97], -0.5, v[78:79]
	v_add_f64 v[108:109], v[126:127], v[68:69]
	v_fma_f64 v[96:97], v[98:99], s[4:5], v[86:87]
	v_add_f64 v[110:111], v[124:125], v[66:67]
	v_add_f64 v[74:75], v[74:75], v[80:81]
	v_fma_f64 v[86:87], v[98:99], s[6:7], v[86:87]
	v_fma_f64 v[101:102], v[101:102], -0.5, v[124:125]
	v_add_f64 v[82:83], v[82:83], v[84:85]
	v_fma_f64 v[84:85], v[106:107], s[6:7], v[78:79]
	v_add_f64 v[68:69], v[68:69], -v[72:73]
	v_mul_f64 v[80:81], v[96:97], s[6:7]
	v_fma_f64 v[104:105], v[104:105], -0.5, v[126:127]
	v_mul_f64 v[96:97], v[96:97], 0.5
	v_add_f64 v[108:109], v[108:109], v[72:73]
	v_add_f64 v[72:73], v[110:111], v[70:71]
	v_add_f64 v[66:67], v[66:67], -v[70:71]
	v_add_f64 v[74:75], v[74:75], v[76:77]
	v_fma_f64 v[70:71], v[106:107], s[4:5], v[78:79]
	v_mul_f64 v[76:77], v[86:87], s[6:7]
	v_mul_f64 v[78:79], v[86:87], -0.5
	v_fma_f64 v[80:81], v[84:85], 0.5, v[80:81]
	v_fma_f64 v[86:87], v[68:69], s[6:7], v[101:102]
	v_fma_f64 v[84:85], v[84:85], s[4:5], v[96:97]
	;; [unrolled: 1-line block ×5, first 2 shown]
	v_add_f64 v[66:67], v[72:73], v[82:83]
	v_add_f64 v[68:69], v[108:109], v[74:75]
	v_fma_f64 v[104:105], v[70:71], -0.5, v[76:77]
	v_fma_f64 v[106:107], v[70:71], s[4:5], v[78:79]
	v_add_f64 v[70:71], v[72:73], -v[82:83]
	v_add_f64 v[72:73], v[108:109], -v[74:75]
	v_add_f64 v[74:75], v[86:87], v[80:81]
	v_add_f64 v[78:79], v[86:87], -v[80:81]
	v_lshlrev_b32_sdwa v86, v103, v89 dst_sel:DWORD dst_unused:UNUSED_PAD src0_sel:DWORD src1_sel:BYTE_0
	v_mul_u32_u24_e32 v87, 0x21c0, v88
	v_add3_u32 v86, 0, v87, v86
	ds_write_b128 v91, v[112:115] offset:5760
	ds_write_b128 v91, v[120:123] offset:7200
	v_add_f64 v[76:77], v[96:97], v[84:85]
	ds_write_b128 v86, v[66:69]
	v_add_f64 v[66:67], v[56:57], v[62:63]
	v_add_f64 v[80:81], v[96:97], -v[84:85]
	v_add_f64 v[82:83], v[98:99], v[104:105]
	v_add_f64 v[84:85], v[101:102], v[106:107]
	v_add_f64 v[96:97], v[98:99], -v[104:105]
	v_add_f64 v[98:99], v[101:102], -v[106:107]
	ds_write_b128 v86, v[74:77] offset:1440
	ds_write_b128 v86, v[82:85] offset:2880
	;; [unrolled: 1-line block ×5, first 2 shown]
	v_add_f64 v[70:71], v[54:55], v[60:61]
	v_fma_f64 v[66:67], v[66:67], -0.5, v[58:59]
	v_add_f64 v[72:73], v[60:61], v[64:65]
	v_add_f64 v[60:61], v[60:61], -v[64:65]
	v_add_f64 v[74:75], v[46:47], v[50:51]
	v_add_f64 v[58:59], v[58:59], v[56:57]
	v_add_f64 v[80:81], v[56:57], -v[62:63]
	v_add_f64 v[68:69], v[128:129], v[46:47]
	v_add_f64 v[64:65], v[70:71], v[64:65]
	;; [unrolled: 1-line block ×3, first 2 shown]
	v_fma_f64 v[70:71], v[72:73], -0.5, v[54:55]
	v_fma_f64 v[72:73], v[60:61], s[4:5], v[66:67]
	v_add_f64 v[78:79], v[130:131], v[48:49]
	v_fma_f64 v[60:61], v[60:61], s[6:7], v[66:67]
	v_fma_f64 v[74:75], v[74:75], -0.5, v[128:129]
	v_add_f64 v[58:59], v[58:59], v[62:63]
	v_add_f64 v[48:49], v[48:49], -v[52:53]
	v_add_f64 v[68:69], v[68:69], v[50:51]
	v_fma_f64 v[66:67], v[80:81], s[6:7], v[70:71]
	v_mul_f64 v[62:63], v[72:73], s[6:7]
	v_fma_f64 v[76:77], v[76:77], -0.5, v[130:131]
	v_add_f64 v[78:79], v[78:79], v[52:53]
	v_mul_f64 v[72:73], v[72:73], 0.5
	v_add_f64 v[46:47], v[46:47], -v[50:51]
	v_fma_f64 v[50:51], v[80:81], s[4:5], v[70:71]
	v_mul_f64 v[52:53], v[60:61], s[6:7]
	v_mul_f64 v[60:61], v[60:61], -0.5
	v_fma_f64 v[62:63], v[66:67], 0.5, v[62:63]
	v_fma_f64 v[70:71], v[48:49], s[6:7], v[74:75]
	v_add_f64 v[54:55], v[68:69], v[64:65]
	v_add_f64 v[56:57], v[78:79], v[58:59]
	v_fma_f64 v[66:67], v[66:67], s[4:5], v[72:73]
	v_fma_f64 v[72:73], v[46:47], s[4:5], v[76:77]
	;; [unrolled: 1-line block ×4, first 2 shown]
	v_fma_f64 v[80:81], v[50:51], -0.5, v[52:53]
	v_fma_f64 v[82:83], v[50:51], s[4:5], v[60:61]
	v_add_f64 v[48:49], v[78:79], -v[58:59]
	v_add_f64 v[50:51], v[70:71], v[62:63]
	v_add_f64 v[58:59], v[70:71], -v[62:63]
	v_lshlrev_b32_e32 v70, 4, v90
	v_add3_u32 v29, 0, v29, v70
	v_add_f64 v[52:53], v[72:73], v[66:67]
	ds_write_b128 v29, v[54:57]
	v_add_f64 v[54:55], v[38:39], v[40:41]
	v_add_f64 v[46:47], v[68:69], -v[64:65]
	v_add_f64 v[62:63], v[74:75], v[80:81]
	v_add_f64 v[64:65], v[76:77], v[82:83]
	v_add_f64 v[60:61], v[72:73], -v[66:67]
	v_add_f64 v[66:67], v[74:75], -v[80:81]
	;; [unrolled: 1-line block ×3, first 2 shown]
	ds_write_b128 v29, v[50:53] offset:1440
	ds_write_b128 v29, v[62:65] offset:2880
	;; [unrolled: 1-line block ×5, first 2 shown]
	v_add_f64 v[48:49], v[26:27], v[42:43]
	v_fma_f64 v[50:51], v[54:55], -0.5, v[36:37]
	v_add_f64 v[52:53], v[42:43], v[44:45]
	v_add_f64 v[42:43], v[42:43], -v[44:45]
	v_add_f64 v[46:47], v[132:133], v[14:15]
	v_add_f64 v[54:55], v[14:15], v[18:19]
	;; [unrolled: 1-line block ×6, first 2 shown]
	v_fma_f64 v[26:27], v[52:53], -0.5, v[26:27]
	v_fma_f64 v[48:49], v[42:43], s[4:5], v[50:51]
	v_add_f64 v[52:53], v[38:39], -v[40:41]
	v_fma_f64 v[42:43], v[42:43], s[6:7], v[50:51]
	v_add_f64 v[46:47], v[46:47], v[18:19]
	v_fma_f64 v[54:55], v[54:55], -0.5, v[132:133]
	v_fma_f64 v[56:57], v[56:57], -0.5, v[134:135]
	v_add_f64 v[16:17], v[16:17], -v[20:21]
	v_add_f64 v[14:15], v[14:15], -v[18:19]
	v_mul_f64 v[50:51], v[48:49], s[6:7]
	v_fma_f64 v[60:61], v[52:53], s[6:7], v[26:27]
	v_fma_f64 v[18:19], v[52:53], s[4:5], v[26:27]
	v_mul_f64 v[26:27], v[42:43], -0.5
	v_mul_f64 v[48:49], v[48:49], 0.5
	v_add_f64 v[58:59], v[58:59], v[20:21]
	v_mul_f64 v[20:21], v[42:43], s[6:7]
	v_add_f64 v[40:41], v[36:37], v[40:41]
	v_fma_f64 v[52:53], v[14:15], s[4:5], v[56:57]
	v_fma_f64 v[42:43], v[60:61], 0.5, v[50:51]
	v_fma_f64 v[50:51], v[16:17], s[6:7], v[54:55]
	v_fma_f64 v[56:57], v[14:15], s[6:7], v[56:57]
	;; [unrolled: 1-line block ×5, first 2 shown]
	v_fma_f64 v[60:61], v[18:19], -0.5, v[20:21]
	v_add_f64 v[36:37], v[46:47], v[44:45]
	v_add_f64 v[38:39], v[58:59], v[40:41]
	v_add_f64 v[14:15], v[46:47], -v[44:45]
	v_add_f64 v[16:17], v[58:59], -v[40:41]
	v_add_f64 v[18:19], v[50:51], v[42:43]
	v_add_f64 v[40:41], v[50:51], -v[42:43]
	v_add_f64 v[46:47], v[56:57], v[26:27]
	v_add_f64 v[50:51], v[56:57], -v[26:27]
	v_mul_u32_u24_e32 v26, 0x21c0, v94
	v_lshlrev_b32_e32 v27, 4, v95
	v_add_f64 v[20:21], v[52:53], v[48:49]
	v_add3_u32 v29, 0, v26, v27
	v_add_f64 v[26:27], v[22:23], v[24:25]
	v_add_f64 v[44:45], v[54:55], v[60:61]
	v_add_f64 v[42:43], v[52:53], -v[48:49]
	v_add_f64 v[48:49], v[54:55], -v[60:61]
	ds_write_b128 v29, v[36:39]
	ds_write_b128 v29, v[18:21] offset:1440
	ds_write_b128 v29, v[44:47] offset:2880
	;; [unrolled: 1-line block ×5, first 2 shown]
	v_add_f64 v[16:17], v[2:3], v[8:9]
	v_fma_f64 v[18:19], v[26:27], -0.5, v[6:7]
	v_add_f64 v[20:21], v[8:9], v[34:35]
	v_add_f64 v[8:9], v[8:9], -v[34:35]
	v_add_f64 v[6:7], v[6:7], v[22:23]
	v_add_f64 v[26:27], v[0:1], v[10:11]
	;; [unrolled: 1-line block ×5, first 2 shown]
	v_add_f64 v[22:23], v[22:23], -v[24:25]
	v_fma_f64 v[20:21], v[20:21], -0.5, v[2:3]
	v_fma_f64 v[34:35], v[8:9], s[4:5], v[18:19]
	v_add_f64 v[14:15], v[136:137], v[0:1]
	v_add_f64 v[24:25], v[6:7], v[24:25]
	v_fma_f64 v[6:7], v[8:9], s[6:7], v[18:19]
	v_fma_f64 v[26:27], v[26:27], -0.5, v[136:137]
	v_fma_f64 v[36:37], v[36:37], -0.5, v[138:139]
	v_add_f64 v[38:39], v[38:39], v[12:13]
	v_fma_f64 v[18:19], v[22:23], s[6:7], v[20:21]
	v_mul_f64 v[8:9], v[34:35], s[6:7]
	v_mul_f64 v[34:35], v[34:35], 0.5
	v_add_f64 v[12:13], v[4:5], -v[12:13]
	v_add_f64 v[0:1], v[0:1], -v[10:11]
	v_add_f64 v[14:15], v[14:15], v[10:11]
	v_fma_f64 v[10:11], v[22:23], s[4:5], v[20:21]
	v_mul_f64 v[20:21], v[6:7], s[6:7]
	v_mul_f64 v[6:7], v[6:7], -0.5
	v_fma_f64 v[22:23], v[18:19], 0.5, v[8:9]
	v_fma_f64 v[18:19], v[18:19], s[4:5], v[34:35]
	v_fma_f64 v[34:35], v[12:13], s[6:7], v[26:27]
	;; [unrolled: 1-line block ×5, first 2 shown]
	v_fma_f64 v[36:37], v[10:11], -0.5, v[20:21]
	v_fma_f64 v[42:43], v[10:11], s[4:5], v[6:7]
	v_add_f64 v[2:3], v[14:15], v[16:17]
	v_add_f64 v[4:5], v[38:39], v[24:25]
	;; [unrolled: 1-line block ×4, first 2 shown]
	v_add_f64 v[6:7], v[14:15], -v[16:17]
	v_add_f64 v[16:17], v[40:41], -v[18:19]
	v_add_f64 v[18:19], v[26:27], v[36:37]
	v_add_f64 v[20:21], v[0:1], v[42:43]
	v_add_f64 v[8:9], v[38:39], -v[24:25]
	v_add_f64 v[14:15], v[34:35], -v[22:23]
	;; [unrolled: 1-line block ×4, first 2 shown]
	v_mul_u32_u24_e32 v0, 0x21c0, v92
	v_lshlrev_b32_e32 v1, 4, v93
	v_add3_u32 v0, 0, v0, v1
	ds_write_b128 v0, v[2:5]
	ds_write_b128 v0, v[10:13] offset:1440
	ds_write_b128 v0, v[18:21] offset:2880
	;; [unrolled: 1-line block ×5, first 2 shown]
	v_mul_u32_u24_e32 v0, 5, v28
	v_lshlrev_b32_e32 v29, 4, v0
	v_add_co_u32_e32 v34, vcc, s8, v29
	v_addc_co_u32_e32 v35, vcc, 0, v32, vcc
	v_add_co_u32_e32 v20, vcc, s26, v34
	v_addc_co_u32_e32 v21, vcc, 0, v35, vcc
	s_waitcnt lgkmcnt(0)
	s_barrier
	global_load_dwordx4 v[0:3], v[20:21], off offset:400
	s_movk_i32 s9, 0x2190
	v_add_co_u32_e32 v22, vcc, s9, v34
	v_addc_co_u32_e32 v23, vcc, 0, v35, vcc
	global_load_dwordx4 v[8:11], v[22:23], off offset:16
	global_load_dwordx4 v[16:19], v[22:23], off offset:32
	;; [unrolled: 1-line block ×4, first 2 shown]
	v_add_co_u32_e32 v48, vcc, s27, v34
	v_addc_co_u32_e32 v49, vcc, 0, v35, vcc
	global_load_dwordx4 v[24:27], v[48:49], off offset:848
	s_movk_i32 s10, 0x4350
	v_add_co_u32_e32 v50, vcc, s10, v34
	v_addc_co_u32_e32 v51, vcc, 0, v35, vcc
	global_load_dwordx4 v[20:23], v[50:51], off offset:16
	global_load_dwordx4 v[36:39], v[48:49], off offset:912
	;; [unrolled: 1-line block ×4, first 2 shown]
	ds_read_b128 v[48:51], v100 offset:8640
	ds_read_b128 v[56:59], v100 offset:10368
	s_movk_i32 s10, 0x6000
	v_add_co_u32_e32 v64, vcc, s10, v34
	v_addc_co_u32_e32 v65, vcc, 0, v35, vcc
	global_load_dwordx4 v[52:55], v[64:65], off offset:1296
	ds_read_b128 v[60:63], v100 offset:17280
	s_movk_i32 s10, 0x6510
	v_add_co_u32_e32 v94, vcc, s10, v34
	v_addc_co_u32_e32 v95, vcc, 0, v35, vcc
	s_mov_b32 s10, 0x8000
	v_add_u32_e32 v29, 0x8700, v29
	s_waitcnt vmcnt(10) lgkmcnt(2)
	v_mul_f64 v[66:67], v[50:51], v[2:3]
	v_mul_f64 v[96:97], v[48:49], v[2:3]
	v_fma_f64 v[2:3], v[48:49], v[0:1], v[66:67]
	ds_read_b128 v[66:69], v100 offset:15552
	s_waitcnt vmcnt(9) lgkmcnt(1)
	v_mul_f64 v[48:49], v[62:63], v[10:11]
	v_mul_f64 v[10:11], v[60:61], v[10:11]
	ds_read_b128 v[70:73], v100 offset:25920
	ds_read_b128 v[74:77], v100 offset:34560
	global_load_dwordx4 v[78:81], v[94:95], off offset:16
	global_load_dwordx4 v[82:85], v[94:95], off offset:32
	v_fma_f64 v[0:1], v[50:51], v[0:1], -v[96:97]
	ds_read_b128 v[86:89], v100 offset:27648
	s_waitcnt vmcnt(10) lgkmcnt(2)
	v_mul_f64 v[98:99], v[72:73], v[18:19]
	v_mul_f64 v[18:19], v[70:71], v[18:19]
	v_fma_f64 v[129:130], v[60:61], v[8:9], v[48:49]
	global_load_dwordx4 v[48:51], v[94:95], off offset:48
	v_fma_f64 v[131:132], v[62:63], v[8:9], -v[10:11]
	global_load_dwordx4 v[8:11], v[64:65], off offset:1360
	v_add_co_u32_e32 v64, vcc, s10, v34
	v_addc_co_u32_e32 v65, vcc, 0, v35, vcc
	s_mov_b32 s10, 0x86d0
	v_add_co_u32_e32 v34, vcc, s10, v34
	s_waitcnt vmcnt(11) lgkmcnt(1)
	v_mul_f64 v[101:102], v[76:77], v[14:15]
	v_mul_f64 v[14:15], v[74:75], v[14:15]
	v_addc_co_u32_e32 v35, vcc, 0, v35, vcc
	v_fma_f64 v[98:99], v[70:71], v[16:17], v[98:99]
	v_fma_f64 v[133:134], v[72:73], v[16:17], -v[18:19]
	global_load_dwordx4 v[16:19], v[64:65], off offset:1744
	global_load_dwordx4 v[60:63], v[34:35], off offset:16
	ds_read_b128 v[90:93], v100 offset:32832
	v_fma_f64 v[135:136], v[74:75], v[12:13], v[101:102]
	v_fma_f64 v[137:138], v[76:77], v[12:13], -v[14:15]
	ds_read_b128 v[12:15], v100 offset:43200
	ds_read_b128 v[70:73], v100 offset:44928
	global_load_dwordx4 v[94:97], v[34:35], off offset:32
	global_load_dwordx4 v[101:104], v[34:35], off offset:48
	;; [unrolled: 1-line block ×3, first 2 shown]
	v_add_co_u32_e32 v29, vcc, s8, v29
	v_addc_co_u32_e32 v32, vcc, 0, v32, vcc
	v_add_co_u32_e32 v34, vcc, s26, v29
	v_addc_co_u32_e32 v35, vcc, 0, v32, vcc
	s_waitcnt vmcnt(15) lgkmcnt(1)
	v_mul_f64 v[125:126], v[14:15], v[6:7]
	global_load_dwordx4 v[109:112], v[34:35], off offset:400
	v_mul_f64 v[6:7], v[12:13], v[6:7]
	v_add_co_u32_e32 v64, vcc, s9, v29
	v_addc_co_u32_e32 v65, vcc, 0, v32, vcc
	global_load_dwordx4 v[113:116], v[64:65], off offset:16
	global_load_dwordx4 v[121:124], v[64:65], off offset:32
	v_fma_f64 v[143:144], v[12:13], v[4:5], v[125:126]
	v_fma_f64 v[145:146], v[14:15], v[4:5], -v[6:7]
	global_load_dwordx4 v[4:7], v[64:65], off offset:48
	global_load_dwordx4 v[12:15], v[34:35], off offset:464
	ds_read_b128 v[74:77], v100 offset:19008
	ds_read_b128 v[117:120], v100 offset:20736
	s_waitcnt vmcnt(19)
	v_mul_f64 v[127:128], v[58:59], v[26:27]
	v_mul_f64 v[26:27], v[56:57], v[26:27]
	s_waitcnt vmcnt(16)
	v_mul_f64 v[64:65], v[88:89], v[42:43]
	s_waitcnt lgkmcnt(1)
	v_mul_f64 v[139:140], v[76:77], v[22:23]
	v_mul_f64 v[141:142], v[74:75], v[22:23]
	v_fma_f64 v[147:148], v[56:57], v[24:25], v[127:128]
	v_fma_f64 v[149:150], v[58:59], v[24:25], -v[26:27]
	ds_read_b128 v[22:25], v100 offset:36288
	ds_read_b128 v[56:59], v100 offset:38016
	v_fma_f64 v[139:140], v[74:75], v[20:21], v[139:140]
	v_fma_f64 v[141:142], v[76:77], v[20:21], -v[141:142]
	v_mul_f64 v[20:21], v[86:87], v[42:43]
	s_waitcnt vmcnt(15) lgkmcnt(1)
	v_mul_f64 v[26:27], v[24:25], v[46:47]
	ds_read_b128 v[74:77], v100 offset:12096
	ds_read_b128 v[125:128], v100 offset:13824
	v_mul_f64 v[42:43], v[72:73], v[38:39]
	v_mul_f64 v[38:39], v[70:71], v[38:39]
	v_fma_f64 v[86:87], v[86:87], v[40:41], v[64:65]
	v_mul_f64 v[34:35], v[22:23], v[46:47]
	s_waitcnt vmcnt(14) lgkmcnt(1)
	v_mul_f64 v[46:47], v[76:77], v[54:55]
	v_fma_f64 v[88:89], v[88:89], v[40:41], -v[20:21]
	v_mul_f64 v[40:41], v[74:75], v[54:55]
	v_fma_f64 v[151:152], v[22:23], v[44:45], v[26:27]
	ds_read_b128 v[20:23], v100 offset:29376
	v_fma_f64 v[157:158], v[72:73], v[36:37], -v[38:39]
	s_waitcnt vmcnt(13)
	v_mul_f64 v[38:39], v[119:120], v[80:81]
	v_fma_f64 v[153:154], v[24:25], v[44:45], -v[34:35]
	ds_read_b128 v[24:27], v100 offset:31104
	v_fma_f64 v[155:156], v[70:71], v[36:37], v[42:43]
	v_fma_f64 v[159:160], v[74:75], v[52:53], v[46:47]
	v_fma_f64 v[161:162], v[76:77], v[52:53], -v[40:41]
	v_mul_f64 v[40:41], v[117:118], v[80:81]
	s_waitcnt vmcnt(12) lgkmcnt(1)
	v_mul_f64 v[46:47], v[22:23], v[84:85]
	v_mul_f64 v[52:53], v[20:21], v[84:85]
	ds_read_b128 v[34:37], v100 offset:46656
	ds_read_b128 v[42:45], v100 offset:48384
	v_fma_f64 v[70:71], v[117:118], v[78:79], v[38:39]
	s_waitcnt vmcnt(11)
	v_mul_f64 v[38:39], v[58:59], v[50:51]
	v_mul_f64 v[50:51], v[56:57], v[50:51]
	s_waitcnt vmcnt(10) lgkmcnt(1)
	v_mul_f64 v[54:55], v[36:37], v[10:11]
	v_fma_f64 v[72:73], v[119:120], v[78:79], -v[40:41]
	v_fma_f64 v[117:118], v[20:21], v[82:83], v[46:47]
	v_fma_f64 v[119:120], v[22:23], v[82:83], -v[52:53]
	v_mul_f64 v[10:11], v[34:35], v[10:11]
	ds_read_b128 v[20:23], v100 offset:22464
	ds_read_b128 v[78:81], v100 offset:24192
	v_fma_f64 v[74:75], v[56:57], v[48:49], v[38:39]
	v_fma_f64 v[163:164], v[34:35], v[8:9], v[54:55]
	s_waitcnt vmcnt(9)
	v_mul_f64 v[34:35], v[127:128], v[18:19]
	v_mul_f64 v[18:19], v[125:126], v[18:19]
	s_waitcnt vmcnt(8) lgkmcnt(1)
	v_mul_f64 v[38:39], v[22:23], v[62:63]
	v_fma_f64 v[165:166], v[36:37], v[8:9], -v[10:11]
	ds_read_b128 v[8:11], v100 offset:39744
	v_fma_f64 v[76:77], v[58:59], v[48:49], -v[50:51]
	v_mul_f64 v[36:37], v[20:21], v[62:63]
	s_waitcnt vmcnt(7)
	v_mul_f64 v[50:51], v[26:27], v[96:97]
	v_mul_f64 v[54:55], v[24:25], v[96:97]
	v_fma_f64 v[48:49], v[125:126], v[16:17], v[34:35]
	v_fma_f64 v[52:53], v[127:128], v[16:17], -v[18:19]
	ds_read_b128 v[16:19], v100 offset:41472
	v_fma_f64 v[40:41], v[20:21], v[60:61], v[38:39]
	s_waitcnt vmcnt(6) lgkmcnt(1)
	v_mul_f64 v[20:21], v[10:11], v[103:104]
	v_fma_f64 v[46:47], v[22:23], v[60:61], -v[36:37]
	v_fma_f64 v[60:61], v[24:25], v[94:95], v[50:51]
	v_fma_f64 v[56:57], v[26:27], v[94:95], -v[54:55]
	v_mul_f64 v[22:23], v[8:9], v[103:104]
	s_waitcnt vmcnt(5)
	v_mul_f64 v[24:25], v[44:45], v[107:108]
	v_mul_f64 v[26:27], v[42:43], v[107:108]
	s_waitcnt vmcnt(4)
	v_mul_f64 v[34:35], v[68:69], v[111:112]
	v_fma_f64 v[50:51], v[8:9], v[101:102], v[20:21]
	v_mul_f64 v[8:9], v[66:67], v[111:112]
	s_waitcnt vmcnt(3)
	v_mul_f64 v[20:21], v[80:81], v[115:116]
	v_mul_f64 v[38:39], v[78:79], v[115:116]
	v_fma_f64 v[54:55], v[10:11], v[101:102], -v[22:23]
	v_fma_f64 v[64:65], v[42:43], v[105:106], v[24:25]
	v_fma_f64 v[62:63], v[44:45], v[105:106], -v[26:27]
	v_fma_f64 v[34:35], v[66:67], v[109:110], v[34:35]
	s_waitcnt vmcnt(2)
	v_mul_f64 v[22:23], v[92:93], v[123:124]
	v_mul_f64 v[42:43], v[90:91], v[123:124]
	s_waitcnt vmcnt(1) lgkmcnt(0)
	v_mul_f64 v[44:45], v[18:19], v[6:7]
	v_mul_f64 v[6:7], v[16:17], v[6:7]
	v_add_f64 v[66:67], v[133:134], v[145:146]
	v_fma_f64 v[36:37], v[68:69], v[109:110], -v[8:9]
	ds_read_b128 v[8:11], v100 offset:50112
	v_fma_f64 v[24:25], v[78:79], v[113:114], v[20:21]
	v_fma_f64 v[26:27], v[80:81], v[113:114], -v[38:39]
	v_fma_f64 v[38:39], v[90:91], v[121:122], v[22:23]
	ds_read_b128 v[20:23], v100
	s_waitcnt vmcnt(0) lgkmcnt(1)
	v_mul_f64 v[68:69], v[10:11], v[14:15]
	v_fma_f64 v[58:59], v[92:93], v[121:122], -v[42:43]
	v_fma_f64 v[42:43], v[16:17], v[4:5], v[44:45]
	v_mul_f64 v[14:15], v[8:9], v[14:15]
	v_fma_f64 v[44:45], v[18:19], v[4:5], -v[6:7]
	v_add_f64 v[4:5], v[98:99], v[143:144]
	v_add_f64 v[6:7], v[98:99], -v[143:144]
	v_fma_f64 v[16:17], v[66:67], -0.5, v[0:1]
	v_fma_f64 v[68:69], v[8:9], v[12:13], v[68:69]
	v_add_f64 v[8:9], v[129:130], v[135:136]
	v_add_f64 v[18:19], v[131:132], v[137:138]
	v_fma_f64 v[66:67], v[10:11], v[12:13], -v[14:15]
	v_add_f64 v[10:11], v[2:3], v[98:99]
	s_waitcnt lgkmcnt(0)
	v_add_f64 v[12:13], v[20:21], v[129:130]
	v_fma_f64 v[2:3], v[4:5], -0.5, v[2:3]
	v_fma_f64 v[4:5], v[6:7], s[4:5], v[16:17]
	v_add_f64 v[14:15], v[133:134], -v[145:146]
	v_fma_f64 v[6:7], v[6:7], s[6:7], v[16:17]
	v_fma_f64 v[20:21], v[8:9], -0.5, v[20:21]
	v_add_f64 v[8:9], v[22:23], v[131:132]
	v_fma_f64 v[18:19], v[18:19], -0.5, v[22:23]
	v_add_f64 v[22:23], v[10:11], v[143:144]
	v_add_f64 v[12:13], v[12:13], v[135:136]
	v_mul_f64 v[10:11], v[4:5], s[6:7]
	v_fma_f64 v[78:79], v[14:15], s[6:7], v[2:3]
	v_mul_f64 v[4:5], v[4:5], 0.5
	v_add_f64 v[80:81], v[131:132], -v[137:138]
	v_fma_f64 v[2:3], v[14:15], s[4:5], v[2:3]
	v_mul_f64 v[14:15], v[6:7], s[6:7]
	v_add_f64 v[82:83], v[129:130], -v[135:136]
	v_add_f64 v[0:1], v[0:1], v[133:134]
	v_add_f64 v[16:17], v[8:9], v[137:138]
	;; [unrolled: 1-line block ×3, first 2 shown]
	v_fma_f64 v[84:85], v[78:79], 0.5, v[10:11]
	v_mul_f64 v[6:7], v[6:7], -0.5
	v_fma_f64 v[78:79], v[78:79], s[4:5], v[4:5]
	v_fma_f64 v[90:91], v[80:81], s[6:7], v[20:21]
	;; [unrolled: 1-line block ×3, first 2 shown]
	v_fma_f64 v[92:93], v[2:3], -0.5, v[14:15]
	v_add_f64 v[4:5], v[12:13], -v[22:23]
	v_add_f64 v[22:23], v[88:89], v[157:158]
	v_fma_f64 v[80:81], v[82:83], s[4:5], v[18:19]
	v_add_f64 v[0:1], v[0:1], v[145:146]
	v_fma_f64 v[82:83], v[82:83], s[6:7], v[18:19]
	v_fma_f64 v[94:95], v[2:3], s[4:5], v[6:7]
	v_add_f64 v[96:97], v[86:87], v[155:156]
	v_add_f64 v[12:13], v[20:21], v[92:93]
	v_add_f64 v[20:21], v[20:21], -v[92:93]
	v_add_f64 v[92:93], v[141:142], v[153:154]
	v_add_f64 v[98:99], v[86:87], -v[155:156]
	v_fma_f64 v[101:102], v[22:23], -0.5, v[149:150]
	v_add_f64 v[18:19], v[80:81], v[78:79]
	v_add_f64 v[2:3], v[80:81], -v[78:79]
	ds_read_b128 v[78:81], v100 offset:1728
	v_add_f64 v[10:11], v[16:17], v[0:1]
	v_add_f64 v[6:7], v[16:17], -v[0:1]
	v_add_f64 v[16:17], v[90:91], v[84:85]
	v_add_f64 v[0:1], v[90:91], -v[84:85]
	v_add_f64 v[14:15], v[82:83], v[94:95]
	v_add_f64 v[90:91], v[139:140], v[151:152]
	v_add_f64 v[22:23], v[82:83], -v[94:95]
	ds_read_b128 v[82:85], v100 offset:3456
	s_waitcnt lgkmcnt(1)
	v_add_f64 v[94:95], v[80:81], v[141:142]
	v_fma_f64 v[80:81], v[92:93], -0.5, v[80:81]
	v_fma_f64 v[92:93], v[96:97], -0.5, v[147:148]
	v_fma_f64 v[96:97], v[98:99], s[4:5], v[101:102]
	v_add_f64 v[103:104], v[88:89], -v[157:158]
	v_fma_f64 v[90:91], v[90:91], -0.5, v[78:79]
	v_add_f64 v[78:79], v[78:79], v[139:140]
	v_add_f64 v[88:89], v[149:150], v[88:89]
	v_add_f64 v[105:106], v[141:142], -v[153:154]
	v_fma_f64 v[98:99], v[98:99], s[6:7], v[101:102]
	v_add_f64 v[86:87], v[147:148], v[86:87]
	v_mul_f64 v[101:102], v[96:97], s[6:7]
	v_fma_f64 v[107:108], v[103:104], s[6:7], v[92:93]
	v_mul_f64 v[96:97], v[96:97], 0.5
	v_add_f64 v[94:95], v[94:95], v[153:154]
	v_add_f64 v[88:89], v[88:89], v[157:158]
	;; [unrolled: 1-line block ×3, first 2 shown]
	v_add_f64 v[78:79], v[139:140], -v[151:152]
	v_fma_f64 v[92:93], v[103:104], s[4:5], v[92:93]
	v_mul_f64 v[103:104], v[98:99], s[6:7]
	v_fma_f64 v[101:102], v[107:108], 0.5, v[101:102]
	v_fma_f64 v[96:97], v[107:108], s[4:5], v[96:97]
	v_fma_f64 v[107:108], v[105:106], s[6:7], v[90:91]
	v_add_f64 v[86:87], v[86:87], v[155:156]
	v_fma_f64 v[105:106], v[105:106], s[4:5], v[90:91]
	v_fma_f64 v[111:112], v[78:79], s[4:5], v[80:81]
	;; [unrolled: 1-line block ×3, first 2 shown]
	v_fma_f64 v[115:116], v[92:93], -0.5, v[103:104]
	v_add_f64 v[80:81], v[94:95], v[88:89]
	v_add_f64 v[88:89], v[94:95], -v[88:89]
	v_add_f64 v[90:91], v[107:108], v[101:102]
	v_add_f64 v[94:95], v[107:108], -v[101:102]
	v_add_f64 v[107:108], v[119:120], v[165:166]
	v_mul_f64 v[98:99], v[98:99], -0.5
	v_add_f64 v[78:79], v[109:110], v[86:87]
	v_add_f64 v[86:87], v[109:110], -v[86:87]
	v_add_f64 v[101:102], v[105:106], v[115:116]
	v_add_f64 v[105:106], v[105:106], -v[115:116]
	s_waitcnt lgkmcnt(0)
	v_add_f64 v[109:110], v[82:83], v[70:71]
	v_add_f64 v[115:116], v[159:160], v[117:118]
	v_fma_f64 v[123:124], v[107:108], -0.5, v[161:162]
	v_add_f64 v[107:108], v[117:118], v[163:164]
	v_add_f64 v[117:118], v[117:118], -v[163:164]
	v_fma_f64 v[98:99], v[92:93], s[4:5], v[98:99]
	v_add_f64 v[92:93], v[111:112], v[96:97]
	v_add_f64 v[96:97], v[111:112], -v[96:97]
	v_add_f64 v[111:112], v[84:85], v[72:73]
	v_add_f64 v[121:122], v[161:162], v[119:120]
	;; [unrolled: 1-line block ×6, first 2 shown]
	v_fma_f64 v[129:130], v[107:108], -0.5, v[159:160]
	v_fma_f64 v[131:132], v[117:118], s[4:5], v[123:124]
	v_add_f64 v[119:120], v[119:120], -v[165:166]
	v_fma_f64 v[117:118], v[117:118], s[6:7], v[123:124]
	v_add_f64 v[103:104], v[113:114], v[98:99]
	v_add_f64 v[111:112], v[111:112], v[76:77]
	;; [unrolled: 1-line block ×3, first 2 shown]
	v_add_f64 v[107:108], v[113:114], -v[98:99]
	v_fma_f64 v[98:99], v[125:126], -0.5, v[82:83]
	v_fma_f64 v[113:114], v[127:128], -0.5, v[84:85]
	v_add_f64 v[82:83], v[109:110], v[115:116]
	v_mul_f64 v[123:124], v[131:132], s[6:7]
	v_fma_f64 v[125:126], v[119:120], s[6:7], v[129:130]
	v_add_f64 v[72:73], v[72:73], -v[76:77]
	v_add_f64 v[74:75], v[70:71], -v[74:75]
	;; [unrolled: 1-line block ×3, first 2 shown]
	v_fma_f64 v[109:110], v[119:120], s[4:5], v[129:130]
	v_mul_f64 v[115:116], v[117:118], s[6:7]
	v_mul_f64 v[117:118], v[117:118], -0.5
	v_add_f64 v[84:85], v[111:112], v[121:122]
	v_mul_f64 v[76:77], v[131:132], 0.5
	v_fma_f64 v[119:120], v[125:126], 0.5, v[123:124]
	v_fma_f64 v[123:124], v[72:73], s[6:7], v[98:99]
	v_fma_f64 v[98:99], v[72:73], s[4:5], v[98:99]
	;; [unrolled: 1-line block ×3, first 2 shown]
	v_fma_f64 v[131:132], v[109:110], -0.5, v[115:116]
	v_fma_f64 v[133:134], v[109:110], s[4:5], v[117:118]
	v_add_f64 v[72:73], v[111:112], -v[121:122]
	v_add_f64 v[121:122], v[56:57], v[62:63]
	v_fma_f64 v[125:126], v[125:126], s[4:5], v[76:77]
	v_fma_f64 v[127:128], v[74:75], s[4:5], v[113:114]
	v_add_f64 v[74:75], v[123:124], v[119:120]
	v_add_f64 v[109:110], v[123:124], -v[119:120]
	v_add_f64 v[113:114], v[98:99], v[131:132]
	v_add_f64 v[115:116], v[129:130], v[133:134]
	v_add_f64 v[117:118], v[98:99], -v[131:132]
	v_add_f64 v[119:120], v[129:130], -v[133:134]
	v_fma_f64 v[98:99], v[121:122], -0.5, v[52:53]
	v_add_f64 v[129:130], v[60:61], v[64:65]
	v_add_f64 v[131:132], v[60:61], -v[64:65]
	ds_read_b128 v[121:124], v100 offset:5184
	v_add_f64 v[76:77], v[127:128], v[125:126]
	v_add_f64 v[111:112], v[127:128], -v[125:126]
	ds_read_b128 v[125:128], v100 offset:6912
	v_add_f64 v[133:134], v[40:41], v[50:51]
	v_add_f64 v[60:61], v[48:49], v[60:61]
	s_waitcnt lgkmcnt(1)
	v_add_f64 v[137:138], v[123:124], v[46:47]
	v_add_f64 v[52:53], v[52:53], v[56:57]
	v_fma_f64 v[129:130], v[129:130], -0.5, v[48:49]
	v_fma_f64 v[139:140], v[131:132], s[4:5], v[98:99]
	v_add_f64 v[56:57], v[56:57], -v[62:63]
	v_add_f64 v[48:49], v[46:47], v[54:55]
	v_fma_f64 v[98:99], v[131:132], s[6:7], v[98:99]
	v_add_f64 v[135:136], v[121:122], v[40:41]
	v_add_f64 v[60:61], v[60:61], v[64:65]
	v_fma_f64 v[64:65], v[133:134], -0.5, v[121:122]
	v_add_f64 v[121:122], v[137:138], v[54:55]
	v_add_f64 v[62:63], v[52:53], v[62:63]
	v_mul_f64 v[52:53], v[139:140], s[6:7]
	v_fma_f64 v[133:134], v[56:57], s[6:7], v[129:130]
	v_fma_f64 v[123:124], v[48:49], -0.5, v[123:124]
	v_mul_f64 v[131:132], v[139:140], 0.5
	v_add_f64 v[46:47], v[46:47], -v[54:55]
	v_add_f64 v[40:41], v[40:41], -v[50:51]
	v_fma_f64 v[54:55], v[56:57], s[4:5], v[129:130]
	v_mul_f64 v[56:57], v[98:99], s[6:7]
	v_mul_f64 v[98:99], v[98:99], -0.5
	v_add_f64 v[135:136], v[135:136], v[50:51]
	v_fma_f64 v[137:138], v[133:134], 0.5, v[52:53]
	v_fma_f64 v[129:130], v[133:134], s[4:5], v[131:132]
	v_fma_f64 v[131:132], v[46:47], s[6:7], v[64:65]
	;; [unrolled: 1-line block ×5, first 2 shown]
	v_fma_f64 v[56:57], v[54:55], -0.5, v[56:57]
	v_fma_f64 v[64:65], v[54:55], s[4:5], v[98:99]
	v_add_f64 v[98:99], v[58:59], v[66:67]
	v_add_f64 v[48:49], v[135:136], v[60:61]
	;; [unrolled: 1-line block ×3, first 2 shown]
	v_add_f64 v[52:53], v[135:136], -v[60:61]
	v_add_f64 v[54:55], v[121:122], -v[62:63]
	v_add_f64 v[60:61], v[131:132], v[137:138]
	v_add_f64 v[62:63], v[133:134], v[129:130]
	v_add_f64 v[121:122], v[131:132], -v[137:138]
	v_add_f64 v[123:124], v[133:134], -v[129:130]
	v_add_f64 v[129:130], v[46:47], v[56:57]
	v_add_f64 v[131:132], v[40:41], v[64:65]
	v_add_f64 v[133:134], v[46:47], -v[56:57]
	v_add_f64 v[135:136], v[40:41], -v[64:65]
	v_add_f64 v[46:47], v[34:35], v[38:39]
	v_fma_f64 v[56:57], v[98:99], -0.5, v[36:37]
	v_add_f64 v[64:65], v[38:39], v[68:69]
	v_add_f64 v[38:39], v[38:39], -v[68:69]
	s_waitcnt lgkmcnt(0)
	v_add_f64 v[40:41], v[125:126], v[24:25]
	v_add_f64 v[98:99], v[24:25], v[42:43]
	;; [unrolled: 1-line block ×6, first 2 shown]
	v_fma_f64 v[64:65], v[64:65], -0.5, v[34:35]
	v_fma_f64 v[68:69], v[38:39], s[4:5], v[56:57]
	v_add_f64 v[58:59], v[58:59], -v[66:67]
	v_fma_f64 v[38:39], v[38:39], s[6:7], v[56:57]
	v_add_f64 v[40:41], v[40:41], v[42:43]
	v_fma_f64 v[98:99], v[98:99], -0.5, v[125:126]
	v_fma_f64 v[125:126], v[137:138], -0.5, v[127:128]
	v_add_f64 v[127:128], v[139:140], v[44:45]
	v_add_f64 v[26:27], v[26:27], -v[44:45]
	v_mul_f64 v[56:57], v[68:69], s[6:7]
	v_fma_f64 v[137:138], v[58:59], s[6:7], v[64:65]
	v_mul_f64 v[68:69], v[68:69], 0.5
	v_add_f64 v[24:25], v[24:25], -v[42:43]
	v_fma_f64 v[42:43], v[58:59], s[4:5], v[64:65]
	v_mul_f64 v[44:45], v[38:39], s[6:7]
	v_mul_f64 v[38:39], v[38:39], -0.5
	v_add_f64 v[66:67], v[36:37], v[66:67]
	v_fma_f64 v[64:65], v[26:27], s[6:7], v[98:99]
	v_fma_f64 v[56:57], v[137:138], 0.5, v[56:57]
	v_fma_f64 v[58:59], v[137:138], s[4:5], v[68:69]
	v_fma_f64 v[68:69], v[24:25], s[4:5], v[125:126]
	;; [unrolled: 1-line block ×4, first 2 shown]
	v_fma_f64 v[137:138], v[42:43], -0.5, v[44:45]
	v_fma_f64 v[139:140], v[42:43], s[4:5], v[38:39]
	v_add_f64 v[34:35], v[40:41], v[46:47]
	v_add_f64 v[36:37], v[127:128], v[66:67]
	v_add_f64 v[24:25], v[40:41], -v[46:47]
	v_add_f64 v[26:27], v[127:128], -v[66:67]
	v_add_f64 v[38:39], v[64:65], v[56:57]
	v_add_f64 v[40:41], v[68:69], v[58:59]
	v_add_f64 v[42:43], v[64:65], -v[56:57]
	v_add_f64 v[44:45], v[68:69], -v[58:59]
	;; [unrolled: 4-line block ×3, first 2 shown]
	s_barrier
	ds_write_b128 v100, v[8:11]
	ds_write_b128 v100, v[16:19] offset:8640
	ds_write_b128 v100, v[12:15] offset:17280
	;; [unrolled: 1-line block ×29, first 2 shown]
	s_waitcnt lgkmcnt(0)
	s_barrier
	s_and_saveexec_b64 s[4:5], s[0:1]
	s_cbranch_execz .LBB0_19
; %bb.18:
	v_lshl_add_u32 v14, v28, 4, 0
	v_mov_b32_e32 v29, v33
	ds_read_b128 v[0:3], v14
	v_mov_b32_e32 v4, s3
	v_add_co_u32_e32 v15, vcc, s2, v30
	v_addc_co_u32_e32 v16, vcc, v4, v31, vcc
	v_lshlrev_b64 v[4:5], 4, v[28:29]
	v_add_u32_e32 v32, 0x6c, v28
	v_add_co_u32_e32 v8, vcc, v15, v4
	v_addc_co_u32_e32 v9, vcc, v16, v5, vcc
	ds_read_b128 v[4:7], v14 offset:50112
	s_waitcnt lgkmcnt(1)
	global_store_dwordx4 v[8:9], v[0:3], off
	ds_read_b128 v[0:3], v14 offset:1728
	v_lshlrev_b64 v[8:9], 4, v[32:33]
	v_add_u32_e32 v32, 0xd8, v28
	v_add_co_u32_e32 v12, vcc, v15, v8
	v_addc_co_u32_e32 v13, vcc, v16, v9, vcc
	ds_read_b128 v[8:11], v14 offset:3456
	s_waitcnt lgkmcnt(1)
	global_store_dwordx4 v[12:13], v[0:3], off
	s_nop 0
	v_lshlrev_b64 v[0:1], 4, v[32:33]
	v_add_u32_e32 v32, 0x144, v28
	v_add_co_u32_e32 v0, vcc, v15, v0
	v_addc_co_u32_e32 v1, vcc, v16, v1, vcc
	s_waitcnt lgkmcnt(0)
	global_store_dwordx4 v[0:1], v[8:11], off
	ds_read_b128 v[0:3], v14 offset:5184
	v_lshlrev_b64 v[8:9], 4, v[32:33]
	v_add_u32_e32 v32, 0x1b0, v28
	v_add_co_u32_e32 v12, vcc, v15, v8
	v_addc_co_u32_e32 v13, vcc, v16, v9, vcc
	ds_read_b128 v[8:11], v14 offset:6912
	s_waitcnt lgkmcnt(1)
	global_store_dwordx4 v[12:13], v[0:3], off
	s_nop 0
	v_lshlrev_b64 v[0:1], 4, v[32:33]
	v_add_u32_e32 v32, 0x21c, v28
	v_add_co_u32_e32 v0, vcc, v15, v0
	v_addc_co_u32_e32 v1, vcc, v16, v1, vcc
	;; [unrolled: 15-line block ×14, first 2 shown]
	s_waitcnt lgkmcnt(0)
	global_store_dwordx4 v[0:1], v[8:11], off
	v_lshlrev_b64 v[0:1], 4, v[32:33]
	v_add_co_u32_e32 v0, vcc, v15, v0
	v_addc_co_u32_e32 v1, vcc, v16, v1, vcc
	global_store_dwordx4 v[0:1], v[4:7], off
.LBB0_19:
	s_endpgm
	.section	.rodata,"a",@progbits
	.p2align	6, 0x0
	.amdhsa_kernel fft_rtc_back_len3240_factors_3_3_10_6_6_wgs_108_tpt_108_halfLds_dp_ip_CI_unitstride_sbrr_C2R_dirReg
		.amdhsa_group_segment_fixed_size 0
		.amdhsa_private_segment_fixed_size 0
		.amdhsa_kernarg_size 88
		.amdhsa_user_sgpr_count 6
		.amdhsa_user_sgpr_private_segment_buffer 1
		.amdhsa_user_sgpr_dispatch_ptr 0
		.amdhsa_user_sgpr_queue_ptr 0
		.amdhsa_user_sgpr_kernarg_segment_ptr 1
		.amdhsa_user_sgpr_dispatch_id 0
		.amdhsa_user_sgpr_flat_scratch_init 0
		.amdhsa_user_sgpr_private_segment_size 0
		.amdhsa_uses_dynamic_stack 0
		.amdhsa_system_sgpr_private_segment_wavefront_offset 0
		.amdhsa_system_sgpr_workgroup_id_x 1
		.amdhsa_system_sgpr_workgroup_id_y 0
		.amdhsa_system_sgpr_workgroup_id_z 0
		.amdhsa_system_sgpr_workgroup_info 0
		.amdhsa_system_vgpr_workitem_id 0
		.amdhsa_next_free_vgpr 230
		.amdhsa_next_free_sgpr 28
		.amdhsa_reserve_vcc 1
		.amdhsa_reserve_flat_scratch 0
		.amdhsa_float_round_mode_32 0
		.amdhsa_float_round_mode_16_64 0
		.amdhsa_float_denorm_mode_32 3
		.amdhsa_float_denorm_mode_16_64 3
		.amdhsa_dx10_clamp 1
		.amdhsa_ieee_mode 1
		.amdhsa_fp16_overflow 0
		.amdhsa_exception_fp_ieee_invalid_op 0
		.amdhsa_exception_fp_denorm_src 0
		.amdhsa_exception_fp_ieee_div_zero 0
		.amdhsa_exception_fp_ieee_overflow 0
		.amdhsa_exception_fp_ieee_underflow 0
		.amdhsa_exception_fp_ieee_inexact 0
		.amdhsa_exception_int_div_zero 0
	.end_amdhsa_kernel
	.text
.Lfunc_end0:
	.size	fft_rtc_back_len3240_factors_3_3_10_6_6_wgs_108_tpt_108_halfLds_dp_ip_CI_unitstride_sbrr_C2R_dirReg, .Lfunc_end0-fft_rtc_back_len3240_factors_3_3_10_6_6_wgs_108_tpt_108_halfLds_dp_ip_CI_unitstride_sbrr_C2R_dirReg
                                        ; -- End function
	.section	.AMDGPU.csdata,"",@progbits
; Kernel info:
; codeLenInByte = 23692
; NumSgprs: 32
; NumVgprs: 230
; ScratchSize: 0
; MemoryBound: 0
; FloatMode: 240
; IeeeMode: 1
; LDSByteSize: 0 bytes/workgroup (compile time only)
; SGPRBlocks: 3
; VGPRBlocks: 57
; NumSGPRsForWavesPerEU: 32
; NumVGPRsForWavesPerEU: 230
; Occupancy: 1
; WaveLimiterHint : 1
; COMPUTE_PGM_RSRC2:SCRATCH_EN: 0
; COMPUTE_PGM_RSRC2:USER_SGPR: 6
; COMPUTE_PGM_RSRC2:TRAP_HANDLER: 0
; COMPUTE_PGM_RSRC2:TGID_X_EN: 1
; COMPUTE_PGM_RSRC2:TGID_Y_EN: 0
; COMPUTE_PGM_RSRC2:TGID_Z_EN: 0
; COMPUTE_PGM_RSRC2:TIDIG_COMP_CNT: 0
	.type	__hip_cuid_f7402a0564daeb21,@object ; @__hip_cuid_f7402a0564daeb21
	.section	.bss,"aw",@nobits
	.globl	__hip_cuid_f7402a0564daeb21
__hip_cuid_f7402a0564daeb21:
	.byte	0                               ; 0x0
	.size	__hip_cuid_f7402a0564daeb21, 1

	.ident	"AMD clang version 19.0.0git (https://github.com/RadeonOpenCompute/llvm-project roc-6.4.0 25133 c7fe45cf4b819c5991fe208aaa96edf142730f1d)"
	.section	".note.GNU-stack","",@progbits
	.addrsig
	.addrsig_sym __hip_cuid_f7402a0564daeb21
	.amdgpu_metadata
---
amdhsa.kernels:
  - .args:
      - .actual_access:  read_only
        .address_space:  global
        .offset:         0
        .size:           8
        .value_kind:     global_buffer
      - .offset:         8
        .size:           8
        .value_kind:     by_value
      - .actual_access:  read_only
        .address_space:  global
        .offset:         16
        .size:           8
        .value_kind:     global_buffer
      - .actual_access:  read_only
        .address_space:  global
        .offset:         24
        .size:           8
        .value_kind:     global_buffer
      - .offset:         32
        .size:           8
        .value_kind:     by_value
      - .actual_access:  read_only
        .address_space:  global
        .offset:         40
        .size:           8
        .value_kind:     global_buffer
      - .actual_access:  read_only
        .address_space:  global
        .offset:         48
        .size:           8
        .value_kind:     global_buffer
      - .offset:         56
        .size:           4
        .value_kind:     by_value
      - .actual_access:  read_only
        .address_space:  global
        .offset:         64
        .size:           8
        .value_kind:     global_buffer
      - .actual_access:  read_only
        .address_space:  global
        .offset:         72
        .size:           8
        .value_kind:     global_buffer
      - .address_space:  global
        .offset:         80
        .size:           8
        .value_kind:     global_buffer
    .group_segment_fixed_size: 0
    .kernarg_segment_align: 8
    .kernarg_segment_size: 88
    .language:       OpenCL C
    .language_version:
      - 2
      - 0
    .max_flat_workgroup_size: 108
    .name:           fft_rtc_back_len3240_factors_3_3_10_6_6_wgs_108_tpt_108_halfLds_dp_ip_CI_unitstride_sbrr_C2R_dirReg
    .private_segment_fixed_size: 0
    .sgpr_count:     32
    .sgpr_spill_count: 0
    .symbol:         fft_rtc_back_len3240_factors_3_3_10_6_6_wgs_108_tpt_108_halfLds_dp_ip_CI_unitstride_sbrr_C2R_dirReg.kd
    .uniform_work_group_size: 1
    .uses_dynamic_stack: false
    .vgpr_count:     230
    .vgpr_spill_count: 0
    .wavefront_size: 64
amdhsa.target:   amdgcn-amd-amdhsa--gfx906
amdhsa.version:
  - 1
  - 2
...

	.end_amdgpu_metadata
